;; amdgpu-corpus repo=ROCm/rocFFT kind=compiled arch=gfx950 opt=O3
	.text
	.amdgcn_target "amdgcn-amd-amdhsa--gfx950"
	.amdhsa_code_object_version 6
	.protected	fft_rtc_fwd_len432_factors_3_16_3_3_wgs_54_tpt_27_halfLds_sp_op_CI_CI_sbrr_dirReg ; -- Begin function fft_rtc_fwd_len432_factors_3_16_3_3_wgs_54_tpt_27_halfLds_sp_op_CI_CI_sbrr_dirReg
	.globl	fft_rtc_fwd_len432_factors_3_16_3_3_wgs_54_tpt_27_halfLds_sp_op_CI_CI_sbrr_dirReg
	.p2align	8
	.type	fft_rtc_fwd_len432_factors_3_16_3_3_wgs_54_tpt_27_halfLds_sp_op_CI_CI_sbrr_dirReg,@function
fft_rtc_fwd_len432_factors_3_16_3_3_wgs_54_tpt_27_halfLds_sp_op_CI_CI_sbrr_dirReg: ; @fft_rtc_fwd_len432_factors_3_16_3_3_wgs_54_tpt_27_halfLds_sp_op_CI_CI_sbrr_dirReg
; %bb.0:
	s_load_dwordx4 s[12:15], s[0:1], 0x18
	s_load_dwordx4 s[8:11], s[0:1], 0x0
	;; [unrolled: 1-line block ×3, first 2 shown]
	v_mul_u32_u24_e32 v1, 0x97c, v0
	v_lshrrev_b32_e32 v56, 16, v1
	s_waitcnt lgkmcnt(0)
	s_load_dwordx2 s[18:19], s[12:13], 0x0
	s_load_dwordx2 s[16:17], s[14:15], 0x0
	v_lshl_add_u32 v4, s2, 1, v56
	v_mov_b32_e32 v2, 0
	v_cmp_lt_u64_e64 s[2:3], s[10:11], 2
	v_mov_b32_e32 v5, v2
	s_and_b64 vcc, exec, s[2:3]
	v_mov_b64_e32 v[20:21], 0
	s_cbranch_vccnz .LBB0_8
; %bb.1:
	s_load_dwordx2 s[2:3], s[0:1], 0x10
	s_add_u32 s20, s14, 8
	s_addc_u32 s21, s15, 0
	s_add_u32 s22, s12, 8
	s_addc_u32 s23, s13, 0
	s_waitcnt lgkmcnt(0)
	s_add_u32 s24, s2, 8
	v_mov_b64_e32 v[20:21], 0
	s_addc_u32 s25, s3, 0
	s_mov_b64 s[26:27], 1
	v_mov_b64_e32 v[16:17], v[20:21]
.LBB0_2:                                ; =>This Inner Loop Header: Depth=1
	s_load_dwordx2 s[28:29], s[24:25], 0x0
                                        ; implicit-def: $vgpr18_vgpr19
	s_waitcnt lgkmcnt(0)
	v_or_b32_e32 v3, s29, v5
	v_cmp_ne_u64_e32 vcc, 0, v[2:3]
	s_and_saveexec_b64 s[2:3], vcc
	s_xor_b64 s[30:31], exec, s[2:3]
	s_cbranch_execz .LBB0_4
; %bb.3:                                ;   in Loop: Header=BB0_2 Depth=1
	v_cvt_f32_u32_e32 v1, s28
	v_cvt_f32_u32_e32 v3, s29
	s_sub_u32 s2, 0, s28
	s_subb_u32 s3, 0, s29
	v_fmac_f32_e32 v1, 0x4f800000, v3
	v_rcp_f32_e32 v1, v1
	s_nop 0
	v_mul_f32_e32 v1, 0x5f7ffffc, v1
	v_mul_f32_e32 v3, 0x2f800000, v1
	v_trunc_f32_e32 v3, v3
	v_fmac_f32_e32 v1, 0xcf800000, v3
	v_cvt_u32_f32_e32 v3, v3
	v_cvt_u32_f32_e32 v1, v1
	v_mul_lo_u32 v6, s2, v3
	v_mul_hi_u32 v8, s2, v1
	v_mul_lo_u32 v7, s3, v1
	v_add_u32_e32 v8, v8, v6
	v_mul_lo_u32 v10, s2, v1
	v_add_u32_e32 v11, v8, v7
	v_mul_hi_u32 v6, v1, v10
	v_mul_hi_u32 v9, v1, v11
	v_mul_lo_u32 v8, v1, v11
	v_mov_b32_e32 v7, v2
	v_lshl_add_u64 v[6:7], v[6:7], 0, v[8:9]
	v_mul_hi_u32 v9, v3, v10
	v_mul_lo_u32 v10, v3, v10
	v_add_co_u32_e32 v6, vcc, v6, v10
	v_mul_hi_u32 v8, v3, v11
	s_nop 0
	v_addc_co_u32_e32 v6, vcc, v7, v9, vcc
	v_mov_b32_e32 v7, v2
	s_nop 0
	v_addc_co_u32_e32 v9, vcc, 0, v8, vcc
	v_mul_lo_u32 v8, v3, v11
	v_lshl_add_u64 v[6:7], v[6:7], 0, v[8:9]
	v_add_co_u32_e32 v1, vcc, v1, v6
	v_mul_lo_u32 v8, s2, v1
	s_nop 0
	v_addc_co_u32_e32 v3, vcc, v3, v7, vcc
	v_mul_lo_u32 v6, s2, v3
	v_mul_hi_u32 v7, s2, v1
	v_add_u32_e32 v6, v7, v6
	v_mul_lo_u32 v7, s3, v1
	v_add_u32_e32 v10, v6, v7
	v_mul_hi_u32 v12, v3, v8
	v_mul_lo_u32 v13, v3, v8
	v_mul_hi_u32 v7, v1, v10
	v_mul_lo_u32 v6, v1, v10
	v_mul_hi_u32 v8, v1, v8
	v_mov_b32_e32 v9, v2
	v_lshl_add_u64 v[6:7], v[8:9], 0, v[6:7]
	v_add_co_u32_e32 v6, vcc, v6, v13
	v_mul_hi_u32 v11, v3, v10
	s_nop 0
	v_addc_co_u32_e32 v6, vcc, v7, v12, vcc
	v_mul_lo_u32 v8, v3, v10
	s_nop 0
	v_addc_co_u32_e32 v9, vcc, 0, v11, vcc
	v_mov_b32_e32 v7, v2
	v_lshl_add_u64 v[6:7], v[6:7], 0, v[8:9]
	v_add_co_u32_e32 v1, vcc, v1, v6
	v_mul_hi_u32 v8, v4, v1
	s_nop 0
	v_addc_co_u32_e32 v3, vcc, v3, v7, vcc
	v_mad_u64_u32 v[6:7], s[2:3], v4, v3, 0
	v_mov_b32_e32 v9, v2
	v_lshl_add_u64 v[6:7], v[8:9], 0, v[6:7]
	v_mad_u64_u32 v[10:11], s[2:3], v5, v1, 0
	v_add_co_u32_e32 v1, vcc, v6, v10
	v_mad_u64_u32 v[8:9], s[2:3], v5, v3, 0
	s_nop 0
	v_addc_co_u32_e32 v6, vcc, v7, v11, vcc
	v_mov_b32_e32 v7, v2
	s_nop 0
	v_addc_co_u32_e32 v9, vcc, 0, v9, vcc
	v_lshl_add_u64 v[6:7], v[6:7], 0, v[8:9]
	v_mul_lo_u32 v1, s29, v6
	v_mul_lo_u32 v3, s28, v7
	v_mad_u64_u32 v[8:9], s[2:3], s28, v6, 0
	v_add3_u32 v1, v9, v3, v1
	v_sub_u32_e32 v3, v5, v1
	v_mov_b32_e32 v9, s29
	v_sub_co_u32_e32 v12, vcc, v4, v8
	v_lshl_add_u64 v[10:11], v[6:7], 0, 1
	s_nop 0
	v_subb_co_u32_e64 v3, s[2:3], v3, v9, vcc
	v_subrev_co_u32_e64 v8, s[2:3], s28, v12
	v_subb_co_u32_e32 v1, vcc, v5, v1, vcc
	s_nop 0
	v_subbrev_co_u32_e64 v3, s[2:3], 0, v3, s[2:3]
	v_cmp_le_u32_e64 s[2:3], s29, v3
	v_cmp_le_u32_e32 vcc, s29, v1
	s_nop 0
	v_cndmask_b32_e64 v9, 0, -1, s[2:3]
	v_cmp_le_u32_e64 s[2:3], s28, v8
	s_nop 1
	v_cndmask_b32_e64 v8, 0, -1, s[2:3]
	v_cmp_eq_u32_e64 s[2:3], s29, v3
	s_nop 1
	v_cndmask_b32_e64 v3, v9, v8, s[2:3]
	v_lshl_add_u64 v[8:9], v[6:7], 0, 2
	v_cmp_ne_u32_e64 s[2:3], 0, v3
	s_nop 1
	v_cndmask_b32_e64 v3, v11, v9, s[2:3]
	v_cndmask_b32_e64 v9, 0, -1, vcc
	v_cmp_le_u32_e32 vcc, s28, v12
	s_nop 1
	v_cndmask_b32_e64 v11, 0, -1, vcc
	v_cmp_eq_u32_e32 vcc, s29, v1
	s_nop 1
	v_cndmask_b32_e32 v1, v9, v11, vcc
	v_cmp_ne_u32_e32 vcc, 0, v1
	v_cndmask_b32_e64 v1, v10, v8, s[2:3]
	s_nop 0
	v_cndmask_b32_e32 v19, v7, v3, vcc
	v_cndmask_b32_e32 v18, v6, v1, vcc
.LBB0_4:                                ;   in Loop: Header=BB0_2 Depth=1
	s_andn2_saveexec_b64 s[2:3], s[30:31]
	s_cbranch_execz .LBB0_6
; %bb.5:                                ;   in Loop: Header=BB0_2 Depth=1
	v_cvt_f32_u32_e32 v1, s28
	s_sub_i32 s30, 0, s28
	v_mov_b32_e32 v19, v2
	v_rcp_iflag_f32_e32 v1, v1
	s_nop 0
	v_mul_f32_e32 v1, 0x4f7ffffe, v1
	v_cvt_u32_f32_e32 v1, v1
	v_mul_lo_u32 v3, s30, v1
	v_mul_hi_u32 v3, v1, v3
	v_add_u32_e32 v1, v1, v3
	v_mul_hi_u32 v1, v4, v1
	v_mul_lo_u32 v3, v1, s28
	v_sub_u32_e32 v3, v4, v3
	v_add_u32_e32 v6, 1, v1
	v_subrev_u32_e32 v7, s28, v3
	v_cmp_le_u32_e32 vcc, s28, v3
	s_nop 1
	v_cndmask_b32_e32 v3, v3, v7, vcc
	v_cndmask_b32_e32 v1, v1, v6, vcc
	v_add_u32_e32 v6, 1, v1
	v_cmp_le_u32_e32 vcc, s28, v3
	s_nop 1
	v_cndmask_b32_e32 v18, v1, v6, vcc
.LBB0_6:                                ;   in Loop: Header=BB0_2 Depth=1
	s_or_b64 exec, exec, s[2:3]
	v_mad_u64_u32 v[6:7], s[2:3], v18, s28, 0
	s_load_dwordx2 s[2:3], s[22:23], 0x0
	v_mul_lo_u32 v1, v19, s28
	v_mul_lo_u32 v3, v18, s29
	s_load_dwordx2 s[28:29], s[20:21], 0x0
	s_add_u32 s26, s26, 1
	v_add3_u32 v1, v7, v3, v1
	v_sub_co_u32_e32 v3, vcc, v4, v6
	s_addc_u32 s27, s27, 0
	s_nop 0
	v_subb_co_u32_e32 v1, vcc, v5, v1, vcc
	s_add_u32 s20, s20, 8
	s_waitcnt lgkmcnt(0)
	v_mul_lo_u32 v4, s2, v1
	v_mul_lo_u32 v5, s3, v3
	v_mad_u64_u32 v[20:21], s[2:3], s2, v3, v[20:21]
	s_addc_u32 s21, s21, 0
	v_add3_u32 v21, v5, v21, v4
	v_mul_lo_u32 v1, s28, v1
	v_mul_lo_u32 v4, s29, v3
	v_mad_u64_u32 v[16:17], s[2:3], s28, v3, v[16:17]
	s_add_u32 s22, s22, 8
	v_add3_u32 v17, v4, v17, v1
	s_addc_u32 s23, s23, 0
	v_mov_b64_e32 v[4:5], s[10:11]
	s_add_u32 s24, s24, 8
	v_cmp_ge_u64_e32 vcc, s[26:27], v[4:5]
	s_addc_u32 s25, s25, 0
	s_cbranch_vccnz .LBB0_9
; %bb.7:                                ;   in Loop: Header=BB0_2 Depth=1
	v_mov_b64_e32 v[4:5], v[18:19]
	s_branch .LBB0_2
.LBB0_8:
	v_mov_b64_e32 v[16:17], v[20:21]
	v_mov_b64_e32 v[18:19], v[4:5]
.LBB0_9:
	s_load_dwordx2 s[0:1], s[0:1], 0x28
	s_lshl_b64 s[20:21], s[10:11], 3
	s_add_u32 s10, s14, s20
	s_addc_u32 s11, s15, s21
                                        ; implicit-def: $vgpr70
                                        ; implicit-def: $vgpr71
                                        ; implicit-def: $vgpr72
                                        ; implicit-def: $vgpr73
                                        ; implicit-def: $vgpr74
	s_waitcnt lgkmcnt(0)
	v_cmp_gt_u64_e32 vcc, s[0:1], v[18:19]
	v_cmp_le_u64_e64 s[0:1], s[0:1], v[18:19]
	s_and_saveexec_b64 s[2:3], s[0:1]
	s_xor_b64 s[0:1], exec, s[2:3]
; %bb.10:
	s_mov_b32 s2, 0x97b425f
	v_mul_hi_u32 v1, v0, s2
	v_mul_u32_u24_e32 v1, 27, v1
	v_sub_u32_e32 v70, v0, v1
	v_add_u32_e32 v71, 27, v70
	v_add_u32_e32 v72, 54, v70
	;; [unrolled: 1-line block ×4, first 2 shown]
                                        ; implicit-def: $vgpr0
                                        ; implicit-def: $vgpr20_vgpr21
; %bb.11:
	s_or_saveexec_b64 s[2:3], s[0:1]
	s_load_dwordx2 s[10:11], s[10:11], 0x0
                                        ; implicit-def: $vgpr32
                                        ; implicit-def: $vgpr36
                                        ; implicit-def: $vgpr30
                                        ; implicit-def: $vgpr28
                                        ; implicit-def: $vgpr42
                                        ; implicit-def: $vgpr54
                                        ; implicit-def: $vgpr44
                                        ; implicit-def: $vgpr2
                                        ; implicit-def: $vgpr8
                                        ; implicit-def: $vgpr48
                                        ; implicit-def: $vgpr10
                                        ; implicit-def: $vgpr4
                                        ; implicit-def: $vgpr6
                                        ; implicit-def: $vgpr46
                                        ; implicit-def: $vgpr14
                                        ; implicit-def: $vgpr12
                                        ; implicit-def: $vgpr24
                                        ; implicit-def: $vgpr50
                                        ; implicit-def: $vgpr26
                                        ; implicit-def: $vgpr34
                                        ; implicit-def: $vgpr38
                                        ; implicit-def: $vgpr52
                                        ; implicit-def: $vgpr40
	s_xor_b64 exec, exec, s[2:3]
	s_cbranch_execz .LBB0_15
; %bb.12:
	s_add_u32 s0, s12, s20
	s_addc_u32 s1, s13, s21
	s_load_dwordx2 s[0:1], s[0:1], 0x0
	s_mov_b32 s12, 0x97b425f
                                        ; implicit-def: $vgpr37
	s_waitcnt lgkmcnt(0)
	v_mul_lo_u32 v1, s1, v18
	v_mul_lo_u32 v4, s0, v19
	v_mad_u64_u32 v[2:3], s[0:1], s0, v18, 0
	v_add3_u32 v3, v3, v4, v1
	v_mul_hi_u32 v1, v0, s12
	v_mul_u32_u24_e32 v1, 27, v1
	v_sub_u32_e32 v70, v0, v1
	v_mad_u64_u32 v[4:5], s[0:1], s18, v70, 0
	v_mov_b32_e32 v0, v5
	v_mad_u64_u32 v[0:1], s[0:1], s19, v70, v[0:1]
	v_add_u32_e32 v7, 0x90, v70
	v_mov_b32_e32 v5, v0
	v_lshl_add_u64 v[0:1], v[2:3], 3, s[4:5]
	v_mad_u64_u32 v[2:3], s[0:1], s18, v7, 0
	v_mov_b32_e32 v6, v3
	v_mad_u64_u32 v[6:7], s[0:1], s19, v7, v[6:7]
	v_lshl_add_u64 v[0:1], v[20:21], 3, v[0:1]
	v_mov_b32_e32 v3, v6
	v_or_b32_e32 v9, 0x120, v70
	v_lshl_add_u64 v[6:7], v[2:3], 3, v[0:1]
	v_mad_u64_u32 v[2:3], s[0:1], s18, v9, 0
	v_mov_b32_e32 v8, v3
	v_mad_u64_u32 v[8:9], s[0:1], s19, v9, v[8:9]
	v_mov_b32_e32 v3, v8
	v_add_u32_e32 v71, 27, v70
	v_lshl_add_u64 v[8:9], v[2:3], 3, v[0:1]
	v_mad_u64_u32 v[2:3], s[0:1], s18, v71, 0
	v_mov_b32_e32 v10, v3
	v_mad_u64_u32 v[10:11], s[0:1], s19, v71, v[10:11]
	v_lshl_add_u64 v[4:5], v[4:5], 3, v[0:1]
	v_mov_b32_e32 v3, v10
	v_lshl_add_u64 v[10:11], v[2:3], 3, v[0:1]
	global_load_dwordx2 v[28:29], v[4:5], off
	global_load_dwordx2 v[42:43], v[6:7], off
	global_load_dwordx2 v[44:45], v[8:9], off
	global_load_dwordx2 v[2:3], v[10:11], off
	v_add_u32_e32 v7, 0xab, v70
	v_mad_u64_u32 v[4:5], s[0:1], s18, v7, 0
	v_mov_b32_e32 v6, v5
	v_mad_u64_u32 v[6:7], s[0:1], s19, v7, v[6:7]
	v_mov_b32_e32 v5, v6
	v_add_u32_e32 v7, 0x13b, v70
	v_lshl_add_u64 v[12:13], v[4:5], 3, v[0:1]
	v_mad_u64_u32 v[4:5], s[0:1], s18, v7, 0
	v_mov_b32_e32 v6, v5
	v_mad_u64_u32 v[6:7], s[0:1], s19, v7, v[6:7]
	v_mov_b32_e32 v5, v6
	v_add_u32_e32 v72, 54, v70
	v_lshl_add_u64 v[14:15], v[4:5], 3, v[0:1]
	;; [unrolled: 6-line block ×3, first 2 shown]
	v_mad_u64_u32 v[4:5], s[0:1], s18, v7, 0
	v_mov_b32_e32 v6, v5
	v_mad_u64_u32 v[6:7], s[0:1], s19, v7, v[6:7]
	v_mov_b32_e32 v5, v6
	v_lshl_add_u64 v[22:23], v[4:5], 3, v[0:1]
	global_load_dwordx2 v[8:9], v[12:13], off
	global_load_dwordx2 v[10:11], v[14:15], off
	;; [unrolled: 1-line block ×4, first 2 shown]
	v_add_u32_e32 v15, 0x156, v70
	v_mad_u64_u32 v[12:13], s[0:1], s18, v15, 0
	v_mov_b32_e32 v14, v13
	v_mad_u64_u32 v[14:15], s[0:1], s19, v15, v[14:15]
	v_mov_b32_e32 v13, v14
	v_add_u32_e32 v73, 0x51, v70
	v_lshl_add_u64 v[20:21], v[12:13], 3, v[0:1]
	v_mad_u64_u32 v[12:13], s[0:1], s18, v73, 0
	v_mov_b32_e32 v14, v13
	v_mad_u64_u32 v[14:15], s[0:1], s19, v73, v[14:15]
	v_mov_b32_e32 v13, v14
	v_add_u32_e32 v15, 0xe1, v70
	v_lshl_add_u64 v[22:23], v[12:13], 3, v[0:1]
	;; [unrolled: 6-line block ×4, first 2 shown]
	global_load_dwordx2 v[14:15], v[20:21], off
	global_load_dwordx2 v[12:13], v[22:23], off
	;; [unrolled: 1-line block ×4, first 2 shown]
	v_mad_u64_u32 v[20:21], s[0:1], s18, v74, 0
	v_mov_b32_e32 v22, v21
	v_mad_u64_u32 v[22:23], s[0:1], s19, v74, v[22:23]
	v_add_u32_e32 v31, 0xfc, v70
	v_mov_b32_e32 v21, v22
	v_mad_u64_u32 v[22:23], s[0:1], s18, v31, 0
	v_mov_b32_e32 v30, v23
	v_mad_u64_u32 v[30:31], s[0:1], s19, v31, v[30:31]
	v_add_u32_e32 v33, 0x18c, v70
	v_mov_b32_e32 v23, v30
	v_mad_u64_u32 v[30:31], s[0:1], s18, v33, 0
	v_mov_b32_e32 v32, v31
	v_mad_u64_u32 v[32:33], s[0:1], s19, v33, v[32:33]
	v_lshl_add_u64 v[20:21], v[20:21], 3, v[0:1]
	v_mov_b32_e32 v31, v32
	v_lshl_add_u64 v[22:23], v[22:23], 3, v[0:1]
	v_lshl_add_u64 v[30:31], v[30:31], 3, v[0:1]
	global_load_dwordx2 v[34:35], v[20:21], off
	global_load_dwordx2 v[38:39], v[22:23], off
	;; [unrolled: 1-line block ×3, first 2 shown]
	v_cmp_gt_u32_e64 s[0:1], 9, v70
                                        ; implicit-def: $vgpr31
                                        ; implicit-def: $vgpr33
	s_and_saveexec_b64 s[4:5], s[0:1]
	s_cbranch_execz .LBB0_14
; %bb.13:
	v_add_u32_e32 v23, 0x87, v70
	v_mad_u64_u32 v[20:21], s[0:1], s18, v23, 0
	v_mov_b32_e32 v22, v21
	v_mad_u64_u32 v[22:23], s[0:1], s19, v23, v[22:23]
	v_add_u32_e32 v31, 0x117, v70
	v_mov_b32_e32 v21, v22
	v_mad_u64_u32 v[22:23], s[0:1], s18, v31, 0
	v_mov_b32_e32 v30, v23
	v_mad_u64_u32 v[30:31], s[0:1], s19, v31, v[30:31]
	v_add_u32_e32 v33, 0x1a7, v70
	v_mov_b32_e32 v23, v30
	v_mad_u64_u32 v[30:31], s[0:1], s18, v33, 0
	v_mov_b32_e32 v32, v31
	v_mad_u64_u32 v[32:33], s[0:1], s19, v33, v[32:33]
	v_lshl_add_u64 v[20:21], v[20:21], 3, v[0:1]
	v_mov_b32_e32 v31, v32
	v_lshl_add_u64 v[22:23], v[22:23], 3, v[0:1]
	v_lshl_add_u64 v[0:1], v[30:31], 3, v[0:1]
	global_load_dwordx2 v[30:31], v[20:21], off
	global_load_dwordx2 v[36:37], v[22:23], off
	;; [unrolled: 1-line block ×3, first 2 shown]
.LBB0_14:
	s_or_b64 exec, exec, s[4:5]
	s_waitcnt vmcnt(13)
	v_mov_b32_e32 v54, v43
	s_waitcnt vmcnt(12)
	v_mov_b32_e32 v55, v45
	;; [unrolled: 2-line block ×10, first 2 shown]
.LBB0_15:
	s_or_b64 exec, exec, s[2:3]
	v_pk_add_f32 v[0:1], v[36:37], v[32:33] neg_lo:[0,1] neg_hi:[0,1]
	v_pk_add_f32 v[60:61], v[32:33], v[36:37]
	v_mul_f32_e32 v58, 0x3f5db3d7, v1
	v_add_f32_e32 v1, v44, v42
	v_mov_b32_e32 v20, v30
	v_mul_f32_e32 v43, 0.5, v1
	v_and_b32_e32 v1, 1, v56
	v_fmac_f32_e32 v20, -0.5, v60
	v_mov_b32_e32 v7, 0x1b0
	v_cmp_eq_u32_e64 s[0:1], 1, v1
	v_pk_add_f32 v[22:23], v[20:21], v[58:59] op_sel_hi:[0,0]
	v_pk_add_f32 v[20:21], v[20:21], v[58:59] op_sel_hi:[0,0] neg_lo:[0,1] neg_hi:[0,1]
	v_cndmask_b32_e64 v57, 0, v7, s[0:1]
	v_sub_f32_e32 v1, v54, v55
	v_pk_add_f32 v[58:59], v[28:29], v[42:43]
	v_pk_add_f32 v[64:65], v[28:29], v[42:43] op_sel_hi:[0,1] neg_lo:[0,1] neg_hi:[0,1]
	v_mul_f32_e32 v45, 0x3f5db3d7, v1
	v_mov_b32_e32 v59, v65
	v_mad_u32_u24 v43, v70, 12, 0
	v_lshlrev_b32_e32 v60, 2, v57
	v_fmac_f32_e32 v65, 0xbf5db3d7, v1
	v_add_f32_e32 v1, v10, v8
	v_pk_add_f32 v[58:59], v[58:59], v[44:45]
	v_add_u32_e32 v63, v43, v60
	v_mul_f32_e32 v9, 0.5, v1
	ds_write2_b32 v63, v58, v59 offset1:1
	ds_write_b32 v63, v65 offset:8
	v_sub_f32_e32 v7, v48, v49
	v_pk_add_f32 v[58:59], v[2:3], v[8:9]
	v_pk_add_f32 v[64:65], v[2:3], v[8:9] op_sel_hi:[0,1] neg_lo:[0,1] neg_hi:[0,1]
	v_mul_f32_e32 v11, 0x3f5db3d7, v7
	v_mov_b32_e32 v59, v65
	v_mad_i32_i24 v20, v71, 12, 0
	v_fmac_f32_e32 v65, 0xbf5db3d7, v7
	v_add_f32_e32 v7, v14, v6
	v_pk_add_f32 v[58:59], v[58:59], v[10:11]
	v_add_u32_e32 v1, v20, v60
	v_mul_f32_e32 v7, 0.5, v7
	ds_write2_b32 v1, v58, v59 offset1:1
	ds_write_b32 v1, v65 offset:8
	v_sub_f32_e32 v9, v46, v47
	v_pk_add_f32 v[58:59], v[4:5], v[6:7]
	v_pk_add_f32 v[64:65], v[4:5], v[6:7] op_sel_hi:[0,1] neg_lo:[0,1] neg_hi:[0,1]
	v_mul_f32_e32 v15, 0x3f5db3d7, v9
	v_mov_b32_e32 v59, v65
	v_pk_add_f32 v[58:59], v[58:59], v[14:15]
	v_mad_i32_i24 v15, v72, 12, 0
	v_fmac_f32_e32 v65, 0xbf5db3d7, v9
	v_add_f32_e32 v9, v26, v24
	v_add_u32_e32 v7, v15, v60
	v_mul_f32_e32 v25, 0.5, v9
	ds_write2_b32 v7, v58, v59 offset1:1
	ds_write_b32 v7, v65 offset:8
	v_sub_f32_e32 v11, v50, v51
	v_pk_add_f32 v[58:59], v[12:13], v[24:25]
	v_pk_add_f32 v[64:65], v[12:13], v[24:25] op_sel_hi:[0,1] neg_lo:[0,1] neg_hi:[0,1]
	v_mul_f32_e32 v27, 0x3f5db3d7, v11
	v_mov_b32_e32 v59, v65
	v_mad_i32_i24 v23, v73, 12, 0
	v_fmac_f32_e32 v65, 0xbf5db3d7, v11
	v_add_f32_e32 v11, v40, v38
	v_pk_add_f32 v[58:59], v[58:59], v[26:27]
	v_add_u32_e32 v9, v23, v60
	v_mul_f32_e32 v39, 0.5, v11
	ds_write2_b32 v9, v58, v59 offset1:1
	ds_write_b32 v9, v65 offset:8
	v_sub_f32_e32 v27, v52, v53
	v_pk_add_f32 v[58:59], v[34:35], v[38:39]
	v_pk_add_f32 v[64:65], v[34:35], v[38:39] op_sel_hi:[0,1] neg_lo:[0,1] neg_hi:[0,1]
	v_mul_f32_e32 v41, 0x3f5db3d7, v27
	v_mov_b32_e32 v59, v65
	v_mad_i32_i24 v25, v74, 12, 0
	v_pk_add_f32 v[58:59], v[58:59], v[40:41]
	v_add_u32_e32 v11, v25, v60
	v_fmac_f32_e32 v65, 0xbf5db3d7, v27
	v_cmp_lt_u32_e64 s[2:3], 8, v70
	v_cmp_gt_u32_e64 s[0:1], 9, v70
	v_mov_b32_e32 v56, v55
	v_mov_b32_e32 v68, v49
	;; [unrolled: 1-line block ×5, first 2 shown]
	ds_write2_b32 v11, v58, v59 offset1:1
	ds_write_b32 v11, v65 offset:8
	s_and_saveexec_b64 s[4:5], s[0:1]
	s_cbranch_execz .LBB0_17
; %bb.16:
	v_add_f32_e32 v27, v36, v30
	v_add_f32_e32 v27, v32, v27
	v_lshl_add_u32 v32, v57, 2, v43
	ds_write_b32 v32, v27 offset:1620
	v_add_u32_e32 v32, 0x658, v32
	v_mov_b32_e32 v27, v21
	ds_write2_b32 v32, v22, v21 offset1:1
.LBB0_17:
	s_or_b64 exec, exec, s[4:5]
	v_add_f32_e32 v32, v56, v54
	v_sub_f32_e32 v27, v42, v44
	v_mul_f32_e32 v43, 0.5, v32
	v_mov_b32_e32 v42, v54
	v_pk_add_f32 v[44:45], v[28:29], v[54:55] op_sel:[1,0]
	v_pk_add_f32 v[82:83], v[28:29], v[42:43] op_sel:[1,0] neg_lo:[0,1] neg_hi:[0,1]
	v_lshlrev_b32_e32 v28, 3, v71
	v_sub_u32_e32 v20, v20, v28
	v_lshlrev_b32_e32 v28, 3, v72
	v_sub_u32_e32 v15, v15, v28
	;; [unrolled: 2-line block ×3, first 2 shown]
	v_lshlrev_b32_e32 v28, 3, v74
	v_add_u32_e32 v77, v15, v60
	v_lshlrev_b32_e32 v15, 2, v70
	v_sub_u32_e32 v25, v25, v28
	v_mul_f32_e32 v57, 0x3f5db3d7, v27
	v_add3_u32 v80, 0, v60, v15
	v_add_u32_e32 v15, 0, v15
	v_pk_add_f32 v[86:87], v[82:83], v[56:57] neg_lo:[0,1] neg_hi:[0,1]
	v_add_u32_e32 v79, v25, v60
	v_add_u32_e32 v75, v15, v60
	v_sub_f32_e32 v8, v8, v10
	v_fmac_f32_e32 v83, 0x3f5db3d7, v27
	v_add_f32_e32 v10, v68, v48
	v_pk_add_f32 v[84:85], v[44:45], v[56:57]
	s_waitcnt lgkmcnt(0)
	; wave barrier
	s_waitcnt lgkmcnt(0)
	v_add_u32_e32 v76, v20, v60
	v_add_u32_e32 v78, v23, v60
	ds_read_b32 v56, v77
	ds_read_b32 v57, v78
	v_add_u32_e32 v23, 0x200, v75
	v_add_u32_e32 v20, 0x400, v75
	ds_read_b32 v36, v79
	ds_read_b32 v39, v75 offset:1620
	ds_read_b32 v81, v76
	ds_read_b32 v32, v80
	ds_read2_b32 v[58:59], v75 offset0:135 offset1:162
	ds_read2_b32 v[28:29], v75 offset0:189 offset1:216
	;; [unrolled: 1-line block ×5, first 2 shown]
	s_waitcnt lgkmcnt(0)
	; wave barrier
	s_waitcnt lgkmcnt(0)
	ds_write_b32 v63, v83 offset:8
	v_mul_f32_e32 v83, 0.5, v10
	v_mov_b32_e32 v82, v48
	v_pk_add_f32 v[48:49], v[2:3], v[48:49] op_sel:[1,0]
	v_pk_add_f32 v[82:83], v[2:3], v[82:83] op_sel:[1,0] neg_lo:[0,1] neg_hi:[0,1]
	v_mul_f32_e32 v69, 0x3f5db3d7, v8
	v_pk_add_f32 v[2:3], v[48:49], v[68:69]
	v_pk_add_f32 v[48:49], v[82:83], v[68:69] neg_lo:[0,1] neg_hi:[0,1]
	ds_write2_b32 v63, v84, v87 offset1:1
	ds_write2_b32 v1, v2, v49 offset1:1
	v_add_f32_e32 v2, v66, v46
	v_mul_f32_e32 v3, 0.5, v2
	v_mov_b32_e32 v2, v46
	v_sub_f32_e32 v10, v24, v26
	v_sub_f32_e32 v26, v38, v40
	v_pk_add_f32 v[40:41], v[4:5], v[2:3] op_sel:[1,0] neg_lo:[0,1] neg_hi:[0,1]
	v_add_f32_e32 v2, v64, v50
	v_mul_f32_e32 v3, 0.5, v2
	v_mov_b32_e32 v2, v50
	v_sub_f32_e32 v6, v6, v14
	v_pk_add_f32 v[14:15], v[4:5], v[46:47] op_sel:[1,0]
	v_pk_add_f32 v[4:5], v[12:13], v[50:51] op_sel:[1,0]
	v_pk_add_f32 v[12:13], v[12:13], v[2:3] op_sel:[1,0] neg_lo:[0,1] neg_hi:[0,1]
	v_add_f32_e32 v2, v62, v52
	v_mul_f32_e32 v3, 0.5, v2
	v_mov_b32_e32 v2, v52
	v_mul_f32_e32 v65, 0x3f5db3d7, v10
	v_pk_add_f32 v[24:25], v[34:35], v[52:53] op_sel:[1,0]
	v_pk_add_f32 v[34:35], v[34:35], v[2:3] op_sel:[1,0] neg_lo:[0,1] neg_hi:[0,1]
	v_pk_add_f32 v[48:49], v[4:5], v[64:65]
	v_mul_f32_e32 v63, 0x3f5db3d7, v26
	v_mul_f32_e32 v5, 0.5, v61
	v_mov_b32_e32 v4, v37
	v_pk_add_f32 v[52:53], v[24:25], v[62:63]
	v_pk_add_f32 v[62:63], v[34:35], v[62:63] neg_lo:[0,1] neg_hi:[0,1]
	v_fmac_f32_e32 v35, 0x3f5db3d7, v26
	v_pk_add_f32 v[2:3], v[30:31], v[4:5] op_sel:[1,0]
	v_pk_add_f32 v[26:27], v[30:31], v[4:5] op_sel:[1,0] neg_lo:[0,1] neg_hi:[0,1]
	v_mul_f32_e32 v5, 0x3f5db3d7, v0
	v_mov_b32_e32 v3, v27
	v_mov_b32_e32 v4, v33
	v_fmac_f32_e32 v83, 0x3f5db3d7, v8
	v_mul_f32_e32 v67, 0x3f5db3d7, v6
	v_pk_add_f32 v[24:25], v[2:3], v[4:5] neg_lo:[0,1] neg_hi:[0,1]
	v_fmac_f32_e32 v27, 0x3f5db3d7, v0
	v_add_u32_e32 v53, 0x87, v70
	v_pk_add_f32 v[14:15], v[14:15], v[66:67]
	v_pk_add_f32 v[46:47], v[40:41], v[66:67] neg_lo:[0,1] neg_hi:[0,1]
	v_fmac_f32_e32 v41, 0x3f5db3d7, v6
	v_pk_add_f32 v[50:51], v[12:13], v[64:65] neg_lo:[0,1] neg_hi:[0,1]
	v_fmac_f32_e32 v13, 0x3f5db3d7, v10
	ds_write_b32 v1, v83 offset:8
	ds_write2_b32 v7, v14, v47 offset1:1
	ds_write_b32 v7, v41 offset:8
	ds_write2_b32 v9, v48, v51 offset1:1
	;; [unrolled: 2-line block ×3, first 2 shown]
	ds_write_b32 v11, v35 offset:8
	s_and_saveexec_b64 s[4:5], s[0:1]
	s_cbranch_execz .LBB0_19
; %bb.18:
	v_pk_add_f32 v[0:1], v[2:3], v[4:5]
	s_nop 0
	v_mul_u32_u24_e32 v1, 12, v53
	v_add3_u32 v2, 0, v1, v60
	ds_write2_b32 v2, v0, v25 offset1:1
	ds_write_b32 v2, v27 offset:8
.LBB0_19:
	s_or_b64 exec, exec, s[4:5]
	s_movk_i32 s4, 0xab
	v_mul_lo_u16_sdwa v0, v70, s4 dst_sel:DWORD dst_unused:UNUSED_PAD src0_sel:BYTE_0 src1_sel:DWORD
	v_lshrrev_b16_e32 v26, 9, v0
	v_mul_lo_u16_e32 v0, 3, v26
	v_sub_u16_e32 v52, v70, v0
	v_mov_b32_e32 v0, 15
	v_mul_u32_u24_sdwa v0, v52, v0 dst_sel:DWORD dst_unused:UNUSED_PAD src0_sel:BYTE_0 src1_sel:DWORD
	v_lshlrev_b32_e32 v37, 3, v0
	s_waitcnt lgkmcnt(0)
	; wave barrier
	s_waitcnt lgkmcnt(0)
	global_load_dwordx4 v[4:7], v37, s[8:9] offset:16
	global_load_dwordx4 v[12:15], v37, s[8:9] offset:32
	global_load_dwordx4 v[0:3], v37, s[8:9] offset:48
	global_load_dwordx4 v[8:11], v37, s[8:9]
	ds_read2_b32 v[30:31], v75 offset0:135 offset1:162
	ds_read_b32 v34, v77
	ds_read_b32 v35, v78
	;; [unrolled: 1-line block ×5, first 2 shown]
	global_load_dwordx4 v[46:49], v37, s[8:9] offset:80
	global_load_dwordx4 v[62:65], v37, s[8:9] offset:64
	v_mov_b32_e32 v41, v58
	v_mov_b32_e32 v51, v28
	s_waitcnt lgkmcnt(5)
	v_mov_b32_e32 v50, v31
	s_waitcnt lgkmcnt(3)
	v_mov_b32_e32 v67, v35
	v_mov_b32_e32 v66, v56
	s_mov_b32 s4, 0x3f3504f3
	v_mul_u32_u24_e32 v26, 48, v26
	v_or_b32_sdwa v26, v26, v52 dst_sel:DWORD dst_unused:UNUSED_PAD src0_sel:DWORD src1_sel:BYTE_0
	v_lshlrev_b32_e32 v26, 2, v26
	s_waitcnt vmcnt(5)
	v_mov_b32_e32 v68, v7
	s_waitcnt vmcnt(4)
	v_mul_f32_e32 v33, v30, v13
	v_fma_f32 v90, v58, v12, -v33
	s_waitcnt vmcnt(2) lgkmcnt(1)
	v_mul_f32_e32 v33, v38, v9
	v_mul_f32_e32 v61, v40, v7
	v_mov_b32_e32 v7, v13
	v_fma_f32 v33, v81, v8, -v33
	v_mul_f32_e32 v81, v81, v9
	v_fma_f32 v61, v36, v6, -v61
	v_pk_mul_f32 v[40:41], v[40:41], v[6:7]
	v_fmac_f32_e32 v81, v38, v8
	global_load_dwordx4 v[6:9], v37, s[8:9] offset:96
	global_load_dwordx2 v[88:89], v37, s[8:9] offset:112
	v_mov_b32_e32 v82, v15
	v_mov_b32_e32 v83, v0
	v_mov_b32_e32 v85, v0
	v_mov_b32_e32 v0, v15
	v_mov_b32_e32 v15, v1
	v_mov_b32_e32 v69, v12
	v_pk_mul_f32 v[12:13], v[50:51], v[14:15]
	v_mov_b32_e32 v15, v4
	v_mov_b32_e32 v51, v4
	;; [unrolled: 1-line block ×6, first 2 shown]
	v_pk_mul_f32 v[86:87], v[34:35], v[4:5]
	v_mov_b32_e32 v35, v57
	v_mov_b32_e32 v50, v10
	v_pk_mul_f32 v[10:11], v[34:35], v[10:11]
	ds_read2_b32 v[34:35], v75 offset0:189 offset1:216
	v_mov_b32_e32 v37, v30
	v_pk_fma_f32 v[4:5], v[36:37], v[68:69], v[40:41]
	ds_read2_b32 v[36:37], v23 offset0:115 offset1:142
	ds_read2_b32 v[40:41], v20 offset0:41 offset1:68
	v_mov_b32_e32 v30, v59
	v_mov_b32_e32 v68, v31
	s_waitcnt lgkmcnt(2)
	v_mov_b32_e32 v69, v34
	v_mov_b32_e32 v31, v34
	v_pk_mul_f32 v[0:1], v[68:69], v[0:1]
	s_waitcnt lgkmcnt(1)
	v_mov_b32_e32 v68, v37
	s_waitcnt lgkmcnt(0)
	v_mov_b32_e32 v69, v40
	v_pk_fma_f32 v[12:13], v[30:31], v[82:83], v[12:13]
	s_waitcnt vmcnt(3)
	v_mov_b32_e32 v31, v46
	v_mov_b32_e32 v83, v46
	s_waitcnt vmcnt(2)
	v_mov_b32_e32 v46, v65
	v_pk_fma_f32 v[50:51], v[56:57], v[50:51], v[86:87] neg_lo:[0,0,1] neg_hi:[0,0,1]
	v_mov_b32_e32 v56, v59
	v_mov_b32_e32 v57, v28
	v_mov_b32_e32 v58, v55
	v_mov_b32_e32 v59, v44
	v_mov_b32_e32 v82, v64
	v_pk_mul_f32 v[68:69], v[68:69], v[46:47]
	v_mul_f32_e32 v28, v54, v63
	v_pk_fma_f32 v[58:59], v[58:59], v[82:83], v[68:69] neg_lo:[0,0,1] neg_hi:[0,0,1]
	v_mov_b32_e32 v68, v35
	v_mov_b32_e32 v69, v36
	v_pk_fma_f32 v[10:11], v[66:67], v[14:15], v[10:11]
	v_mov_b32_e32 v15, v62
	v_fmac_f32_e32 v28, v36, v62
	v_mov_b32_e32 v62, v3
	v_pk_fma_f32 v[56:57], v[56:57], v[84:85], v[0:1] neg_lo:[0,0,1] neg_hi:[0,0,1]
	v_mov_b32_e32 v0, v29
	v_mov_b32_e32 v1, v54
	;; [unrolled: 1-line block ×3, first 2 shown]
	v_pk_mul_f32 v[62:63], v[68:69], v[62:63]
	v_mov_b32_e32 v30, v65
	v_pk_fma_f32 v[0:1], v[0:1], v[14:15], v[62:63] neg_lo:[0,0,1] neg_hi:[0,0,1]
	v_mov_b32_e32 v14, v37
	v_mov_b32_e32 v65, v47
	ds_read2_b32 v[36:37], v20 offset0:95 offset1:122
	ds_read_b32 v47, v75 offset:1620
	v_mov_b32_e32 v15, v44
	v_pk_mul_f32 v[14:15], v[14:15], v[64:65]
	v_mov_b32_e32 v54, v55
	v_mov_b32_e32 v55, v40
	v_pk_fma_f32 v[14:15], v[54:55], v[30:31], v[14:15]
	v_mov_b32_e32 v30, v49
	v_mul_f32_e32 v34, v41, v49
	v_mov_b32_e32 v40, v41
	v_mov_b32_e32 v41, v42
	s_waitcnt lgkmcnt(1)
	v_mov_b32_e32 v46, v37
	v_mov_b32_e32 v38, v43
	v_fma_f32 v34, v45, v48, -v34
	v_sub_f32_e32 v44, v81, v28
	v_fma_f32 v54, v81, 2.0, -v44
	v_sub_f32_e32 v28, v61, v34
	v_pk_add_f32 v[14:15], v[10:11], v[14:15] neg_lo:[0,1] neg_hi:[0,1]
	s_waitcnt lgkmcnt(0)
	v_fma_f32 v34, v10, 2.0, -v14
	; wave barrier
	s_waitcnt vmcnt(1)
	v_mov_b32_e32 v49, v7
	v_mul_f32_e32 v7, v36, v7
	v_mov_b32_e32 v31, v6
	v_pk_mul_f32 v[40:41], v[40:41], v[48:49]
	v_fma_f32 v42, v42, v6, -v7
	v_mov_b32_e32 v6, v45
	v_mov_b32_e32 v7, v36
	s_waitcnt vmcnt(0)
	v_mov_b32_e32 v49, v88
	v_pk_fma_f32 v[6:7], v[6:7], v[30:31], v[40:41]
	v_mov_b32_e32 v31, v88
	v_mov_b32_e32 v88, v9
	;; [unrolled: 1-line block ×3, first 2 shown]
	v_pk_mul_f32 v[40:41], v[46:47], v[88:89]
	v_mov_b32_e32 v48, v9
	v_pk_fma_f32 v[30:31], v[38:39], v[30:31], v[40:41] neg_lo:[0,0,1] neg_hi:[0,0,1]
	v_mov_b32_e32 v38, v37
	v_mov_b32_e32 v9, v89
	;; [unrolled: 1-line block ×3, first 2 shown]
	v_pk_mul_f32 v[8:9], v[38:39], v[8:9]
	v_pk_add_f32 v[36:37], v[32:33], v[0:1] neg_lo:[0,1] neg_hi:[0,1]
	v_pk_fma_f32 v[8:9], v[46:47], v[48:49], v[8:9]
	v_pk_add_f32 v[0:1], v[4:5], v[6:7] neg_lo:[0,1] neg_hi:[0,1]
	v_pk_add_f32 v[6:7], v[50:51], v[58:59] neg_lo:[0,1] neg_hi:[0,1]
	;; [unrolled: 1-line block ×3, first 2 shown]
	v_fma_f32 v39, v50, 2.0, -v6
	v_fma_f32 v40, v56, 2.0, -v30
	v_pk_add_f32 v[8:9], v[12:13], v[8:9] neg_lo:[0,1] neg_hi:[0,1]
	v_fma_f32 v5, v5, 2.0, -v1
	v_fma_f32 v32, v32, 2.0, -v36
	;; [unrolled: 1-line block ×4, first 2 shown]
	v_sub_f32_e32 v41, v90, v42
	v_fma_f32 v45, v11, 2.0, -v15
	v_pk_add_f32 v[10:11], v[36:37], v[0:1] neg_lo:[0,1] neg_hi:[0,1]
	v_sub_f32_e32 v1, v39, v40
	v_sub_f32_e32 v5, v54, v5
	v_fma_f32 v33, v33, 2.0, -v37
	v_fma_f32 v42, v90, 2.0, -v41
	;; [unrolled: 1-line block ×5, first 2 shown]
	v_sub_f32_e32 v38, v32, v38
	v_sub_f32_e32 v40, v34, v12
	v_fma_f32 v48, v39, 2.0, -v1
	v_pk_add_f32 v[8:9], v[6:7], v[8:9] neg_lo:[0,1] neg_hi:[0,1]
	v_pk_add_f32 v[12:13], v[14:15], v[30:31]
	v_fma_f32 v39, v54, 2.0, -v5
	v_add_f32_e32 v54, v44, v41
	v_fma_f32 v32, v32, 2.0, -v38
	v_fma_f32 v36, v36, 2.0, -v10
	;; [unrolled: 1-line block ×3, first 2 shown]
	v_sub_f32_e32 v51, v33, v42
	v_fma_f32 v44, v44, 2.0, -v54
	v_sub_f32_e32 v55, v43, v46
	v_sub_f32_e32 v56, v45, v47
	v_fma_f32 v15, v15, 2.0, -v13
	v_fma_f32 v14, v14, 2.0, -v12
	;; [unrolled: 1-line block ×7, first 2 shown]
	v_sub_f32_e32 v58, v32, v48
	v_fmamk_f32 v61, v6, 0xbf3504f3, v36
	v_fmamk_f32 v45, v15, 0xbf3504f3, v44
	v_fma_f32 v59, v32, 2.0, -v58
	v_mul_f32_e32 v46, 0x3f3504f3, v6
	v_fmac_f32_e32 v61, 0xbf3504f3, v14
	v_sub_f32_e32 v62, v38, v40
	v_pk_mul_f32 v[32:33], v[12:13], s[4:5] op_sel_hi:[1,0]
	v_pk_fma_f32 v[6:7], v[8:9], s[4:5], v[10:11] op_sel_hi:[1,0,1]
	v_sub_f32_e32 v42, v49, v41
	v_fmamk_f32 v41, v57, 0xbf3504f3, v50
	v_fmac_f32_e32 v45, 0x3f3504f3, v57
	v_sub_f32_e32 v56, v51, v56
	v_add_f32_e32 v57, v5, v55
	v_mul_f32_e32 v47, 0x3f3504f3, v14
	v_fma_f32 v14, v36, 2.0, -v61
	v_fma_f32 v38, v38, 2.0, -v62
	v_pk_mul_f32 v[36:37], v[8:9], s[4:5] op_sel_hi:[1,0]
	v_pk_fma_f32 v[30:31], v[12:13], s[4:5], v[6:7] op_sel_hi:[1,0,1] neg_lo:[1,0,0] neg_hi:[1,0,0]
	v_fmac_f32_e32 v41, 0xbf3504f3, v15
	v_fma_f32 v55, v51, 2.0, -v56
	v_fma_f32 v63, v5, 2.0, -v57
	v_add_f32_e32 v5, v54, v33
	v_fma_f32 v7, v49, 2.0, -v42
	v_fma_f32 v49, v50, 2.0, -v41
	v_add_f32_e32 v33, v37, v5
	v_fma_f32 v37, v11, 2.0, -v31
	v_fmamk_f32 v11, v55, 0xbf3504f3, v38
	v_fma_f32 v6, v10, 2.0, -v30
	v_fma_f32 v50, v44, 2.0, -v45
	v_fmamk_f32 v9, v49, 0xbf6c835e, v14
	v_fmac_f32_e32 v11, 0xbf3504f3, v63
	v_sub_f32_e32 v48, v39, v43
	v_fma_f32 v51, v54, 2.0, -v33
	v_fmac_f32_e32 v9, 0xbec3ef15, v50
	v_fma_f32 v12, v38, 2.0, -v11
	v_fmamk_f32 v13, v37, 0xbec3ef15, v6
	v_fmamk_f32 v38, v41, 0x3ec3ef15, v61
	v_fmamk_f32 v5, v31, 0x3f6c835e, v30
	v_sub_f32_e32 v7, v59, v7
	v_fma_f32 v10, v14, 2.0, -v9
	v_fmac_f32_e32 v13, 0xbf6c835e, v51
	v_sub_f32_e32 v14, v58, v48
	v_fmac_f32_e32 v38, 0xbf6c835e, v45
	v_fmamk_f32 v44, v56, 0x3f3504f3, v62
	v_fmac_f32_e32 v5, 0xbec3ef15, v33
	v_fma_f32 v8, v59, 2.0, -v7
	v_fma_f32 v6, v6, 2.0, -v13
	;; [unrolled: 1-line block ×4, first 2 shown]
	v_fmac_f32_e32 v44, 0xbf3504f3, v57
	v_fma_f32 v58, v30, 2.0, -v5
	v_add3_u32 v30, 0, v26, v60
	v_fma_f32 v54, v62, 2.0, -v44
	ds_write2_b32 v30, v8, v10 offset1:3
	ds_write2_b32 v30, v12, v6 offset0:6 offset1:9
	ds_write2_b32 v30, v15, v43 offset0:12 offset1:15
	;; [unrolled: 1-line block ×7, first 2 shown]
	s_waitcnt lgkmcnt(0)
	; wave barrier
	s_waitcnt lgkmcnt(0)
	ds_read2_b32 v[14:15], v75 offset0:144 offset1:171
	ds_read2_b32 v[6:7], v23 offset0:124 offset1:160
	;; [unrolled: 1-line block ×5, first 2 shown]
	ds_read_b32 v44, v80
	ds_read_b32 v43, v76
	;; [unrolled: 1-line block ×5, first 2 shown]
	v_mul_f32_e32 v54, 0x3f3504f3, v55
	v_mul_f32_e32 v55, 0x3f3504f3, v63
	;; [unrolled: 1-line block ×4, first 2 shown]
	s_and_saveexec_b64 s[4:5], s[0:1]
	s_cbranch_execz .LBB0_21
; %bb.20:
	v_add_u32_e32 v5, 0x200, v75
	ds_read2_b32 v[56:57], v5 offset0:7 offset1:151
	ds_read_b32 v21, v75 offset:1692
	s_waitcnt lgkmcnt(1)
	v_mov_b32_e32 v22, v57
	v_mov_b32_e32 v5, v56
.LBB0_21:
	s_or_b64 exec, exec, s[4:5]
	v_mul_f32_e32 v3, v29, v3
	v_fmac_f32_e32 v3, v35, v2
	v_sub_f32_e32 v2, v24, v3
	v_fma_f32 v0, v4, 2.0, -v0
	v_add_f32_e32 v4, v2, v28
	v_fma_f32 v3, v24, 2.0, -v2
	v_add_f32_e32 v29, v4, v32
	v_sub_f32_e32 v0, v3, v0
	v_fma_f32 v2, v2, 2.0, -v4
	v_add_f32_e32 v29, v36, v29
	v_fma_f32 v3, v3, 2.0, -v0
	v_fma_f32 v24, v34, 2.0, -v40
	v_sub_f32_e32 v28, v2, v47
	v_fma_f32 v4, v4, 2.0, -v29
	v_sub_f32_e32 v24, v3, v24
	v_add_f32_e32 v28, v46, v28
	v_add_f32_e32 v1, v0, v1
	v_fmamk_f32 v36, v51, 0xbec3ef15, v4
	v_fma_f32 v2, v2, 2.0, -v28
	v_fma_f32 v0, v0, 2.0, -v1
	v_fmac_f32_e32 v36, 0x3f6c835e, v37
	v_add_f32_e32 v37, v24, v42
	v_fma_f32 v3, v3, 2.0, -v24
	v_fma_f32 v32, v39, 2.0, -v48
	v_fmamk_f32 v34, v50, 0xbf6c835e, v2
	v_sub_f32_e32 v35, v0, v55
	v_fma_f32 v39, v24, 2.0, -v37
	v_add_f32_e32 v24, v1, v52
	v_sub_f32_e32 v32, v3, v32
	v_fmac_f32_e32 v34, 0x3ec3ef15, v49
	v_add_f32_e32 v35, v54, v35
	v_fmamk_f32 v40, v45, 0x3ec3ef15, v28
	v_add_f32_e32 v23, v23, v24
	v_fmamk_f32 v24, v33, 0x3f6c835e, v29
	v_fma_f32 v3, v3, 2.0, -v32
	v_fma_f32 v2, v2, 2.0, -v34
	;; [unrolled: 1-line block ×3, first 2 shown]
	v_fmac_f32_e32 v40, 0x3f6c835e, v41
	v_fma_f32 v1, v1, 2.0, -v23
	v_fmac_f32_e32 v24, 0x3ec3ef15, v31
	v_fma_f32 v4, v4, 2.0, -v36
	v_fma_f32 v28, v28, 2.0, -v40
	;; [unrolled: 1-line block ×3, first 2 shown]
	s_waitcnt lgkmcnt(0)
	; wave barrier
	s_waitcnt lgkmcnt(0)
	ds_write2_b32 v30, v3, v2 offset1:3
	ds_write2_b32 v30, v0, v4 offset0:6 offset1:9
	ds_write2_b32 v30, v39, v28 offset0:12 offset1:15
	;; [unrolled: 1-line block ×7, first 2 shown]
	v_add_u32_e32 v0, 0x200, v75
	v_add_u32_e32 v1, 0x400, v75
	s_waitcnt lgkmcnt(0)
	; wave barrier
	s_waitcnt lgkmcnt(0)
	ds_read2_b32 v[2:3], v75 offset0:144 offset1:171
	ds_read2_b32 v[28:29], v0 offset0:124 offset1:160
	;; [unrolled: 1-line block ×5, first 2 shown]
	ds_read_b32 v42, v80
	ds_read_b32 v41, v76
	;; [unrolled: 1-line block ×5, first 2 shown]
	s_and_saveexec_b64 s[4:5], s[0:1]
	s_cbranch_execz .LBB0_23
; %bb.22:
	ds_read2_b32 v[24:25], v0 offset0:7 offset1:151
	ds_read_b32 v27, v75 offset:1692
.LBB0_23:
	s_or_b64 exec, exec, s[4:5]
	v_subrev_u32_e32 v4, 21, v70
	v_cmp_gt_u32_e64 s[4:5], 21, v70
	v_lshlrev_b32_e32 v50, 1, v70
	v_mov_b32_e32 v51, 0
	v_cndmask_b32_e64 v36, v4, v71, s[4:5]
	s_movk_i32 s4, 0xab
	v_lshl_add_u64 v[0:1], v[50:51], 3, s[8:9]
	v_add_u32_e32 v50, 12, v50
	v_mul_lo_u16_sdwa v23, v73, s4 dst_sel:DWORD dst_unused:UNUSED_PAD src0_sel:BYTE_0 src1_sel:DWORD
	v_mul_lo_u16_sdwa v45, v74, s4 dst_sel:DWORD dst_unused:UNUSED_PAD src0_sel:BYTE_0 src1_sel:DWORD
	v_lshl_add_u64 v[54:55], v[50:51], 3, s[8:9]
	v_lshlrev_b32_e32 v50, 1, v36
	v_lshrrev_b16_e32 v81, 13, v23
	v_lshrrev_b16_e32 v23, 13, v45
	v_lshl_add_u64 v[50:51], v[50:51], 3, s[8:9]
	v_mul_lo_u16_e32 v23, 48, v23
	global_load_dwordx4 v[62:65], v[54:55], off offset:360
	global_load_dwordx4 v[66:69], v[50:51], off offset:360
	v_mov_b32_e32 v4, 4
	v_mul_lo_u16_sdwa v50, v53, s4 dst_sel:DWORD dst_unused:UNUSED_PAD src0_sel:BYTE_0 src1_sel:DWORD
	v_sub_u16_e32 v95, v74, v23
	global_load_dwordx4 v[46:49], v[0:1], off offset:360
	v_lshrrev_b16_e32 v45, 13, v50
	v_mul_lo_u16_e32 v50, 48, v81
	v_lshlrev_b32_sdwa v23, v4, v95 dst_sel:DWORD dst_unused:UNUSED_PAD src0_sel:DWORD src1_sel:BYTE_0
	global_load_dwordx4 v[86:89], v23, s[8:9] offset:360
	v_sub_u16_e32 v94, v73, v50
	v_mul_lo_u16_e32 v23, 48, v45
	v_lshlrev_b32_sdwa v50, v4, v94 dst_sel:DWORD dst_unused:UNUSED_PAD src0_sel:DWORD src1_sel:BYTE_0
	v_sub_u16_e32 v45, v53, v23
	global_load_dwordx4 v[82:85], v50, s[8:9] offset:360
	v_lshlrev_b32_sdwa v4, v4, v45 dst_sel:DWORD dst_unused:UNUSED_PAD src0_sel:DWORD src1_sel:BYTE_0
	global_load_dwordx4 v[90:93], v4, s[8:9] offset:360
	v_cmp_lt_u32_e64 s[4:5], 20, v70
	s_movk_i32 s12, 0x240
	s_waitcnt lgkmcnt(0)
	; wave barrier
	s_waitcnt vmcnt(4) lgkmcnt(0)
	v_mul_f32_e32 v55, v15, v67
	v_mul_f32_e32 v56, v12, v69
	v_fmac_f32_e32 v55, v3, v66
	v_fmac_f32_e32 v56, v34, v68
	s_waitcnt vmcnt(3)
	v_mul_f32_e32 v4, v2, v47
	v_mul_f32_e32 v23, v29, v49
	;; [unrolled: 1-line block ×4, first 2 shown]
	v_fma_f32 v49, v14, v46, -v4
	v_fma_f32 v52, v7, v48, -v23
	v_mul_f32_e32 v4, v35, v65
	v_fmac_f32_e32 v50, v2, v46
	v_mul_f32_e32 v2, v32, v63
	v_mul_f32_e32 v7, v3, v67
	v_fma_f32 v51, v13, v64, -v4
	v_add_f32_e32 v4, v49, v52
	v_fmac_f32_e32 v54, v29, v48
	v_mul_f32_e32 v14, v34, v69
	v_fma_f32 v48, v10, v62, -v2
	v_add_f32_e32 v2, v44, v49
	v_fma_f32 v15, v15, v66, -v7
	v_fmac_f32_e32 v44, -0.5, v4
	s_waitcnt vmcnt(1)
	v_mul_f32_e32 v4, v33, v83
	v_mul_f32_e32 v46, v10, v63
	v_fma_f32 v57, v12, v68, -v14
	s_waitcnt vmcnt(0)
	v_mul_f32_e32 v23, v22, v90
	v_mul_f32_e32 v22, v22, v91
	v_fma_f32 v63, v11, v82, -v4
	v_add_f32_e32 v4, v43, v15
	v_mul_f32_e32 v3, v25, v91
	v_fmac_f32_e32 v22, v25, v90
	v_add_f32_e32 v25, v4, v57
	v_add_f32_e32 v4, v15, v57
	;; [unrolled: 1-line block ×3, first 2 shown]
	v_mul_f32_e32 v2, v21, v93
	v_fmac_f32_e32 v43, -0.5, v4
	v_sub_f32_e32 v4, v55, v56
	v_mul_f32_e32 v47, v13, v65
	v_mul_f32_e32 v58, v6, v87
	;; [unrolled: 1-line block ×3, first 2 shown]
	v_fmac_f32_e32 v2, v27, v92
	v_fmamk_f32 v27, v4, 0x3f5db3d7, v43
	v_fmac_f32_e32 v43, 0xbf5db3d7, v4
	v_add_f32_e32 v4, v38, v48
	v_fmac_f32_e32 v46, v32, v62
	v_fmac_f32_e32 v47, v35, v64
	v_mul_f32_e32 v12, v28, v87
	v_fmac_f32_e32 v58, v28, v86
	v_add_f32_e32 v28, v4, v51
	v_add_f32_e32 v4, v48, v51
	v_mul_f32_e32 v7, v30, v85
	v_mul_f32_e32 v62, v8, v85
	v_fmac_f32_e32 v38, -0.5, v4
	v_sub_f32_e32 v4, v46, v47
	v_mul_f32_e32 v61, v11, v83
	v_mul_f32_e32 v59, v9, v89
	v_fma_f32 v64, v8, v84, -v7
	v_fmac_f32_e32 v62, v30, v84
	v_fmamk_f32 v30, v4, 0x3f5db3d7, v38
	v_fmac_f32_e32 v38, 0xbf5db3d7, v4
	v_add_f32_e32 v4, v26, v63
	v_mul_f32_e32 v13, v31, v89
	v_fmac_f32_e32 v61, v33, v82
	v_fmac_f32_e32 v59, v31, v88
	v_add_f32_e32 v31, v4, v64
	v_add_f32_e32 v4, v63, v64
	v_fma_f32 v33, v6, v86, -v12
	v_fmac_f32_e32 v26, -0.5, v4
	v_sub_f32_e32 v4, v61, v62
	v_fma_f32 v65, v9, v88, -v13
	v_fmamk_f32 v34, v4, 0x3f5db3d7, v26
	v_fmac_f32_e32 v26, 0xbf5db3d7, v4
	v_add_f32_e32 v4, v20, v33
	v_sub_f32_e32 v10, v50, v54
	v_add_f32_e32 v35, v4, v65
	v_add_f32_e32 v4, v33, v65
	v_fmamk_f32 v32, v10, 0x3f5db3d7, v44
	v_fmac_f32_e32 v44, 0xbf5db3d7, v10
	v_fmac_f32_e32 v20, -0.5, v4
	v_sub_f32_e32 v4, v58, v59
	v_fma_f32 v7, v21, v92, -v29
	v_pk_add_f32 v[10:11], v[22:23], v[2:3] neg_lo:[0,1] neg_hi:[0,1]
	v_fmamk_f32 v66, v4, 0x3f5db3d7, v20
	v_fmac_f32_e32 v20, 0xbf5db3d7, v4
	v_mov_b32_e32 v4, 0x3f5db3d7
	v_add_f32_e32 v3, v11, v7
	v_pk_mul_f32 v[12:13], v[4:5], v[10:11]
	v_pk_add_f32 v[8:9], v[4:5], v[10:11]
	v_fmac_f32_e32 v5, -0.5, v3
	v_mov_b32_e32 v3, 0x240
	v_cndmask_b32_e64 v3, 0, v3, s[4:5]
	v_mov_b32_e32 v13, v9
	v_mov_b32_e32 v6, v5
	v_add_u32_e32 v3, 0, v3
	v_lshlrev_b32_e32 v4, 2, v36
	v_mov_b32_e32 v10, 2
	v_pk_add_f32 v[8:9], v[12:13], v[6:7]
	v_add3_u32 v3, v3, v4, v60
	v_mad_u32_u24 v4, v81, s12, 0
	v_lshlrev_b32_sdwa v6, v10, v94 dst_sel:DWORD dst_unused:UNUSED_PAD src0_sel:DWORD src1_sel:BYTE_0
	v_add3_u32 v6, v4, v6, v60
	v_lshlrev_b32_sdwa v4, v10, v95 dst_sel:DWORD dst_unused:UNUSED_PAD src0_sel:DWORD src1_sel:BYTE_0
	ds_write2_b32 v75, v14, v32 offset1:48
	ds_write_b32 v75, v44 offset:384
	ds_write2_b32 v3, v25, v27 offset1:48
	ds_write_b32 v3, v43 offset:384
	ds_write2_b32 v75, v28, v30 offset0:150 offset1:198
	ds_write_b32 v75, v38 offset:984
	v_add3_u32 v27, 0, v4, v60
	v_add_u32_e32 v4, 0x400, v27
	ds_write2_b32 v6, v31, v34 offset1:48
	ds_write_b32 v6, v26 offset:384
	ds_write2_b32 v4, v35, v66 offset0:32 offset1:80
	ds_write_b32 v27, v20 offset:1536
	s_and_saveexec_b64 s[4:5], s[2:3]
	s_xor_b64 s[4:5], exec, s[4:5]
	s_or_saveexec_b64 s[4:5], s[4:5]
	v_sub_f32_e32 v10, v5, v12
	s_xor_b64 exec, exec, s[4:5]
	s_cbranch_execz .LBB0_25
; %bb.24:
	v_mov_b32_e32 v4, 2
	v_lshlrev_b32_sdwa v4, v4, v45 dst_sel:DWORD dst_unused:UNUSED_PAD src0_sel:DWORD src1_sel:BYTE_0
	v_add3_u32 v4, 0, v4, v60
	v_add_u32_e32 v5, 0x400, v4
	ds_write2_b32 v5, v9, v8 offset0:32 offset1:80
	ds_write_b32 v4, v10 offset:1536
.LBB0_25:
	s_or_b64 exec, exec, s[4:5]
	v_add_u32_e32 v4, 0x200, v75
	s_waitcnt lgkmcnt(0)
	; wave barrier
	s_waitcnt lgkmcnt(0)
	ds_read2_b32 v[12:13], v4 offset0:124 offset1:160
	v_add_u32_e32 v4, 0x400, v75
	ds_read2_b32 v[34:35], v75 offset0:144 offset1:171
	ds_read2_b32 v[30:31], v4 offset0:59 offset1:86
	;; [unrolled: 1-line block ×4, first 2 shown]
	ds_read_b32 v38, v80
	ds_read_b32 v36, v76
	;; [unrolled: 1-line block ×5, first 2 shown]
	s_and_saveexec_b64 s[4:5], s[2:3]
	s_xor_b64 s[4:5], exec, s[4:5]
	s_or_saveexec_b64 s[4:5], s[4:5]
	v_add_u32_e32 v43, 24, v75
	v_add_u32_e32 v44, 0x300, v75
	s_xor_b64 exec, exec, s[4:5]
	s_cbranch_execz .LBB0_27
; %bb.26:
	v_add_u32_e32 v4, 0x200, v75
	ds_read2_b32 v[4:5], v4 offset0:7 offset1:151
	ds_read_b32 v10, v75 offset:1692
	s_waitcnt lgkmcnt(1)
	v_mov_b32_e32 v8, v5
	v_mov_b32_e32 v9, v4
.LBB0_27:
	s_or_b64 exec, exec, s[4:5]
	v_add_f32_e32 v4, v42, v50
	v_add_f32_e32 v66, v4, v54
	v_add_f32_e32 v4, v50, v54
	v_fmac_f32_e32 v42, -0.5, v4
	v_sub_f32_e32 v4, v49, v52
	v_fmamk_f32 v50, v4, 0xbf5db3d7, v42
	v_fmac_f32_e32 v42, 0x3f5db3d7, v4
	v_add_f32_e32 v4, v41, v55
	v_add_f32_e32 v52, v4, v56
	v_add_f32_e32 v4, v55, v56
	v_fmac_f32_e32 v41, -0.5, v4
	v_sub_f32_e32 v4, v15, v57
	v_fmamk_f32 v15, v4, 0xbf5db3d7, v41
	v_fmac_f32_e32 v41, 0x3f5db3d7, v4
	;; [unrolled: 7-line block ×5, first 2 shown]
	v_add_f32_e32 v4, v22, v2
	v_sub_f32_e32 v46, v11, v7
	v_mov_b32_e32 v48, 0x3f5db3d7
	v_mov_b32_e32 v49, v24
	;; [unrolled: 1-line block ×3, first 2 shown]
	v_fmac_f32_e32 v24, -0.5, v4
	v_pk_mul_f32 v[4:5], v[48:49], v[46:47]
	v_pk_add_f32 v[22:23], v[48:49], v[46:47]
	v_mov_b32_e32 v25, v2
	v_mov_b32_e32 v5, v23
	v_pk_add_f32 v[22:23], v[4:5], v[24:25]
	v_add_u32_e32 v2, 0x400, v27
	s_waitcnt lgkmcnt(0)
	; wave barrier
	s_waitcnt lgkmcnt(0)
	ds_write2_b32 v75, v66, v50 offset1:48
	ds_write_b32 v75, v42 offset:384
	ds_write2_b32 v3, v52, v15 offset1:48
	ds_write_b32 v3, v41 offset:384
	ds_write_b32 v44, v51 offset:24
	ds_write2_b32 v43, v54, v40 offset0:144 offset1:240
	ds_write2_b32 v6, v55, v56 offset1:48
	ds_write_b32 v6, v39 offset:384
	ds_write2_b32 v2, v57, v33 offset0:32 offset1:80
	ds_write_b32 v27, v37 offset:1536
	s_and_saveexec_b64 s[4:5], s[2:3]
	s_xor_b64 s[4:5], exec, s[4:5]
; %bb.28:
                                        ; implicit-def: $vgpr45
                                        ; implicit-def: $vgpr60
; %bb.29:
	s_or_saveexec_b64 s[4:5], s[4:5]
	v_sub_f32_e32 v25, v24, v4
	s_xor_b64 exec, exec, s[4:5]
	s_cbranch_execz .LBB0_31
; %bb.30:
	v_mov_b32_e32 v2, 2
	v_lshlrev_b32_sdwa v2, v2, v45 dst_sel:DWORD dst_unused:UNUSED_PAD src0_sel:DWORD src1_sel:BYTE_0
	v_add3_u32 v2, 0, v2, v60
	v_add_u32_e32 v3, 0x400, v2
	ds_write2_b32 v3, v23, v25 offset0:32 offset1:80
	ds_write_b32 v2, v22 offset:1536
.LBB0_31:
	s_or_b64 exec, exec, s[4:5]
	v_add_u32_e32 v2, 0x200, v75
	s_waitcnt lgkmcnt(0)
	; wave barrier
	s_waitcnt lgkmcnt(0)
	ds_read2_b32 v[40:41], v2 offset0:124 offset1:160
	v_add_u32_e32 v2, 0x400, v75
	ds_read2_b32 v[48:49], v75 offset0:144 offset1:171
	ds_read2_b32 v[46:47], v2 offset0:59 offset1:86
	;; [unrolled: 1-line block ×4, first 2 shown]
	ds_read_b32 v39, v80
	ds_read_b32 v37, v76
	;; [unrolled: 1-line block ×5, first 2 shown]
	s_and_saveexec_b64 s[4:5], s[2:3]
	s_xor_b64 s[2:3], exec, s[4:5]
	s_cbranch_execnz .LBB0_35
; %bb.32:
	s_andn2_saveexec_b64 s[2:3], s[2:3]
	s_cbranch_execnz .LBB0_36
.LBB0_33:
	s_or_b64 exec, exec, s[2:3]
	s_and_saveexec_b64 s[2:3], vcc
	s_cbranch_execnz .LBB0_37
.LBB0_34:
	s_endpgm
.LBB0_35:
                                        ; implicit-def: $vgpr75
	s_andn2_saveexec_b64 s[2:3], s[2:3]
	s_cbranch_execz .LBB0_33
.LBB0_36:
	v_add_u32_e32 v2, 0x200, v75
	ds_read2_b32 v[24:25], v2 offset0:7 offset1:151
	ds_read_b32 v22, v75 offset:1692
	s_waitcnt lgkmcnt(1)
	v_mov_b32_e32 v23, v24
	s_or_b64 exec, exec, s[2:3]
	s_and_saveexec_b64 s[2:3], vcc
	s_cbranch_execz .LBB0_34
.LBB0_37:
	global_load_dwordx4 v[0:3], v[0:1], off offset:1128
	v_mul_lo_u32 v6, s11, v18
	v_mul_lo_u32 v7, s10, v19
	v_mad_u64_u32 v[4:5], s[2:3], s10, v18, 0
	v_lshlrev_b32_e32 v18, 1, v74
	v_mov_b32_e32 v19, 0
	v_lshl_add_u64 v[58:59], v[18:19], 3, s[8:9]
	v_lshlrev_b32_e32 v18, 1, v73
	v_lshl_add_u64 v[50:51], v[18:19], 3, s[8:9]
	v_lshlrev_b32_e32 v18, 1, v72
	s_mov_b32 s4, 0x38e38e39
	v_add3_u32 v5, v5, v7, v6
	v_lshl_add_u64 v[56:57], v[18:19], 3, s[8:9]
	v_lshlrev_b32_e32 v18, 1, v71
	v_mul_hi_u32 v6, v70, s4
	v_lshl_add_u64 v[62:63], v[4:5], 3, s[6:7]
	v_lshl_add_u64 v[4:5], v[18:19], 3, s[8:9]
	s_waitcnt lgkmcnt(9)
	v_mov_b32_e32 v54, v41
	v_lshrrev_b32_e32 v41, 5, v6
	global_load_dwordx4 v[4:7], v[4:5], off offset:1128
	v_add_u32_e32 v11, 27, v70
	s_movk_i32 s3, 0x90
	v_mov_b32_e32 v52, v13
	v_mov_b32_e32 v24, v13
	v_mul_hi_u32 v13, v11, s4
	v_lshrrev_b32_e32 v13, 5, v13
	v_mul_lo_u32 v18, v41, s3
	v_mul_lo_u32 v41, v13, s3
	v_sub_u32_e32 v55, v70, v18
	s_movk_i32 s5, 0x1b0
	v_lshl_add_u64 v[16:17], v[16:17], 3, v[62:63]
	v_sub_u32_e32 v18, v11, v41
	v_mad_u64_u32 v[62:63], s[6:7], s16, v55, 0
	v_add_u32_e32 v11, 0x90, v55
	v_add_u32_e32 v41, 0x120, v55
	v_mad_u64_u32 v[64:65], s[6:7], v13, s5, v[18:19]
	v_mov_b32_e32 v18, v63
	v_mad_u64_u32 v[66:67], s[6:7], s16, v11, 0
	v_mad_u64_u32 v[68:69], s[6:7], s16, v41, 0
	;; [unrolled: 1-line block ×3, first 2 shown]
	v_mov_b32_e32 v18, v67
	v_mov_b32_e32 v76, v69
	v_mov_b32_e32 v63, v74
	v_mad_u64_u32 v[74:75], s[6:7], s17, v11, v[18:19]
	v_mad_u64_u32 v[76:77], s[6:7], s17, v41, v[76:77]
	v_mov_b32_e32 v67, v74
	v_mov_b32_e32 v69, v76
	s_mov_b32 s2, 0x3f5db3d7
	global_load_dwordx4 v[58:61], v[58:59], off offset:1128
	v_lshl_add_u64 v[62:63], v[62:63], 3, v[16:17]
	v_lshl_add_u64 v[66:67], v[66:67], 3, v[16:17]
	v_add_u32_e32 v11, 0x90, v64
	v_lshl_add_u64 v[68:69], v[68:69], 3, v[16:17]
	v_mad_u64_u32 v[72:73], s[6:7], s16, v64, 0
	v_mov_b32_e32 v78, v73
	v_mad_u64_u32 v[78:79], s[6:7], s17, v64, v[78:79]
	v_mov_b32_e32 v73, v78
	s_waitcnt vmcnt(2) lgkmcnt(8)
	v_pk_mul_f32 v[74:75], v[48:49], v[0:1] op_sel_hi:[0,1]
	v_pk_mul_f32 v[54:55], v[54:55], v[2:3] op_sel_hi:[0,1]
	v_pk_fma_f32 v[76:77], v[34:35], v[0:1], v[74:75] op_sel:[0,0,1] op_sel_hi:[1,1,0] neg_lo:[0,0,1] neg_hi:[0,0,1]
	v_pk_fma_f32 v[0:1], v[34:35], v[0:1], v[74:75] op_sel:[0,0,1] op_sel_hi:[0,1,0]
	v_pk_fma_f32 v[74:75], v[52:53], v[2:3], v[54:55] op_sel:[0,0,1] op_sel_hi:[1,1,0] neg_lo:[0,0,1] neg_hi:[0,0,1]
	v_pk_fma_f32 v[2:3], v[24:25], v[2:3], v[54:55] op_sel:[0,0,1] op_sel_hi:[0,1,0]
	v_mov_b32_e32 v77, v1
	v_mov_b32_e32 v75, v3
	v_pk_add_f32 v[0:1], v[76:77], v[74:75]
	v_pk_add_f32 v[2:3], v[76:77], v[74:75] neg_lo:[0,1] neg_hi:[0,1]
	s_waitcnt lgkmcnt(4)
	v_pk_add_f32 v[54:55], v[38:39], v[76:77]
	v_pk_fma_f32 v[0:1], v[0:1], 0.5, v[38:39] op_sel_hi:[1,0,1] neg_lo:[1,0,0] neg_hi:[1,0,0]
	v_pk_mul_f32 v[2:3], v[2:3], s[2:3] op_sel_hi:[1,0]
	v_pk_add_f32 v[38:39], v[54:55], v[74:75]
	v_pk_add_f32 v[54:55], v[0:1], v[2:3] op_sel:[0,1] op_sel_hi:[1,0] neg_lo:[0,1] neg_hi:[0,1]
	v_pk_add_f32 v[74:75], v[0:1], v[2:3] op_sel:[0,1] op_sel_hi:[1,0]
	global_load_dwordx4 v[0:3], v[56:57], off offset:1128
	v_mov_b32_e32 v24, v35
	global_store_dwordx2 v[62:63], v[38:39], off
	v_mov_b32_e32 v38, v74
	v_mov_b32_e32 v39, v55
	;; [unrolled: 1-line block ×3, first 2 shown]
	global_store_dwordx2 v[66:67], v[38:39], off
	global_store_dwordx2 v[68:69], v[54:55], off
	v_mad_u64_u32 v[54:55], s[6:7], s16, v11, 0
	v_mov_b32_e32 v18, v55
	v_mad_u64_u32 v[56:57], s[6:7], s17, v11, v[18:19]
	v_add_u32_e32 v11, 0x120, v64
	v_mov_b32_e32 v55, v56
	v_mad_u64_u32 v[56:57], s[6:7], s16, v11, 0
	v_mov_b32_e32 v18, v57
	v_mad_u64_u32 v[62:63], s[6:7], s17, v11, v[18:19]
	v_mov_b32_e32 v18, v49
	s_waitcnt vmcnt(5)
	v_pk_mul_f32 v[48:49], v[18:19], v[4:5] op_sel_hi:[0,1]
	v_mov_b32_e32 v18, v35
	v_pk_fma_f32 v[34:35], v[18:19], v[4:5], v[48:49] op_sel:[0,0,1] op_sel_hi:[1,1,0] neg_lo:[0,0,1] neg_hi:[0,0,1]
	v_pk_fma_f32 v[4:5], v[24:25], v[4:5], v[48:49] op_sel:[0,0,1] op_sel_hi:[0,1,0]
	v_mov_b32_e32 v35, v5
	v_pk_mul_f32 v[4:5], v[46:47], v[6:7] op_sel_hi:[0,1]
	v_pk_fma_f32 v[48:49], v[30:31], v[6:7], v[4:5] op_sel:[0,0,1] op_sel_hi:[1,1,0] neg_lo:[0,0,1] neg_hi:[0,0,1]
	v_pk_fma_f32 v[4:5], v[30:31], v[6:7], v[4:5] op_sel:[0,0,1] op_sel_hi:[0,1,0]
	v_mov_b32_e32 v49, v5
	v_pk_add_f32 v[4:5], v[34:35], v[48:49]
	v_pk_add_f32 v[6:7], v[34:35], v[48:49] neg_lo:[0,1] neg_hi:[0,1]
	s_waitcnt lgkmcnt(3)
	v_pk_fma_f32 v[4:5], v[4:5], 0.5, v[36:37] op_sel_hi:[1,0,1] neg_lo:[1,0,0] neg_hi:[1,0,0]
	v_pk_mul_f32 v[6:7], v[6:7], s[2:3] op_sel_hi:[1,0]
	v_mov_b32_e32 v57, v62
	v_pk_add_f32 v[62:63], v[4:5], v[6:7] op_sel:[0,1] op_sel_hi:[1,0] neg_lo:[0,1] neg_hi:[0,1]
	v_pk_add_f32 v[4:5], v[4:5], v[6:7] op_sel:[0,1] op_sel_hi:[1,0]
	v_pk_add_f32 v[6:7], v[36:37], v[34:35]
	v_lshl_add_u64 v[38:39], v[72:73], 3, v[16:17]
	v_pk_add_f32 v[6:7], v[6:7], v[48:49]
	global_store_dwordx2 v[38:39], v[6:7], off
	v_mov_b32_e32 v6, v4
	v_add_u32_e32 v4, 54, v70
	v_mov_b32_e32 v7, v63
	v_mov_b32_e32 v63, v5
	v_mul_hi_u32 v5, v4, s4
	v_lshl_add_u64 v[54:55], v[54:55], 3, v[16:17]
	v_lshrrev_b32_e32 v5, 5, v5
	global_store_dwordx2 v[54:55], v[6:7], off
	v_mul_lo_u32 v6, v5, s3
	v_sub_u32_e32 v4, v4, v6
	v_mad_u64_u32 v[34:35], s[6:7], v5, s5, v[4:5]
	global_load_dwordx4 v[4:7], v[50:51], off offset:1128
	v_mad_u64_u32 v[36:37], s[6:7], s16, v34, 0
	v_mov_b32_e32 v18, v37
	v_mad_u64_u32 v[38:39], s[6:7], s17, v34, v[18:19]
	v_add_u32_e32 v11, 0x90, v34
	v_mov_b32_e32 v37, v38
	v_mad_u64_u32 v[38:39], s[6:7], s16, v11, 0
	v_mov_b32_e32 v18, v39
	v_mad_u64_u32 v[48:49], s[6:7], s17, v11, v[18:19]
	v_add_u32_e32 v11, 0x120, v34
	v_mad_u64_u32 v[34:35], s[6:7], s16, v11, 0
	v_mov_b32_e32 v18, v35
	v_mov_b32_e32 v39, v48
	v_mad_u64_u32 v[48:49], s[6:7], s17, v11, v[18:19]
	v_mov_b32_e32 v35, v48
	v_mov_b32_e32 v18, v31
	;; [unrolled: 1-line block ×3, first 2 shown]
	v_lshl_add_u64 v[56:57], v[56:57], 3, v[16:17]
	v_lshl_add_u64 v[36:37], v[36:37], 3, v[16:17]
	global_store_dwordx2 v[56:57], v[62:63], off
	v_lshl_add_u64 v[38:39], v[38:39], 3, v[16:17]
	v_lshl_add_u64 v[34:35], v[34:35], 3, v[16:17]
	s_waitcnt vmcnt(7)
	v_pk_mul_f32 v[48:49], v[44:45], v[0:1] op_sel_hi:[0,1]
	v_pk_fma_f32 v[50:51], v[28:29], v[0:1], v[48:49] op_sel:[0,0,1] op_sel_hi:[1,1,0] neg_lo:[0,0,1] neg_hi:[0,0,1]
	v_pk_fma_f32 v[0:1], v[28:29], v[0:1], v[48:49] op_sel:[0,0,1] op_sel_hi:[0,1,0]
	v_mov_b32_e32 v0, v47
	v_mov_b32_e32 v51, v1
	v_pk_mul_f32 v[0:1], v[0:1], v[2:3] op_sel_hi:[0,1]
	v_pk_fma_f32 v[30:31], v[18:19], v[2:3], v[0:1] op_sel:[0,0,1] op_sel_hi:[1,1,0] neg_lo:[0,0,1] neg_hi:[0,0,1]
	v_pk_fma_f32 v[0:1], v[24:25], v[2:3], v[0:1] op_sel:[0,0,1] op_sel_hi:[0,1,0]
	v_mov_b32_e32 v31, v1
	v_pk_add_f32 v[0:1], v[50:51], v[30:31]
	v_pk_add_f32 v[2:3], v[50:51], v[30:31] neg_lo:[0,1] neg_hi:[0,1]
	s_waitcnt lgkmcnt(2)
	v_pk_fma_f32 v[0:1], v[0:1], 0.5, v[32:33] op_sel_hi:[1,0,1] neg_lo:[1,0,0] neg_hi:[1,0,0]
	v_pk_mul_f32 v[2:3], v[2:3], s[2:3] op_sel_hi:[1,0]
	v_mov_b32_e32 v24, v29
	v_pk_add_f32 v[46:47], v[0:1], v[2:3] op_sel:[0,1] op_sel_hi:[1,0] neg_lo:[0,1] neg_hi:[0,1]
	v_pk_add_f32 v[0:1], v[0:1], v[2:3] op_sel:[0,1] op_sel_hi:[1,0]
	v_pk_add_f32 v[2:3], v[32:33], v[50:51]
	s_nop 0
	v_pk_add_f32 v[2:3], v[2:3], v[30:31]
	global_store_dwordx2 v[36:37], v[2:3], off
	v_mov_b32_e32 v2, v0
	v_add_u32_e32 v0, 0x51, v70
	v_mov_b32_e32 v3, v47
	v_mov_b32_e32 v47, v1
	v_mul_hi_u32 v1, v0, s4
	v_lshrrev_b32_e32 v1, 5, v1
	global_store_dwordx2 v[38:39], v[2:3], off
	v_mul_lo_u32 v2, v1, s3
	v_sub_u32_e32 v0, v0, v2
	v_mad_u64_u32 v[0:1], s[6:7], v1, s5, v[0:1]
	v_mad_u64_u32 v[2:3], s[6:7], s16, v0, 0
	v_mov_b32_e32 v18, v3
	v_mad_u64_u32 v[30:31], s[6:7], s17, v0, v[18:19]
	v_add_u32_e32 v1, 0x90, v0
	v_mov_b32_e32 v3, v30
	v_mad_u64_u32 v[30:31], s[6:7], s16, v1, 0
	v_mov_b32_e32 v18, v31
	v_add_u32_e32 v11, 0x120, v0
	v_mad_u64_u32 v[32:33], s[6:7], s17, v1, v[18:19]
	v_mad_u64_u32 v[0:1], s[6:7], s16, v11, 0
	v_mov_b32_e32 v18, v1
	v_mov_b32_e32 v31, v32
	v_mad_u64_u32 v[32:33], s[6:7], s17, v11, v[18:19]
	v_mov_b32_e32 v18, v45
	v_mov_b32_e32 v1, v32
	s_waitcnt vmcnt(3)
	v_pk_mul_f32 v[32:33], v[18:19], v[4:5] op_sel_hi:[0,1]
	v_mov_b32_e32 v18, v29
	v_pk_fma_f32 v[28:29], v[18:19], v[4:5], v[32:33] op_sel:[0,0,1] op_sel_hi:[1,1,0] neg_lo:[0,0,1] neg_hi:[0,0,1]
	v_pk_fma_f32 v[4:5], v[24:25], v[4:5], v[32:33] op_sel:[0,0,1] op_sel_hi:[0,1,0]
	v_mov_b32_e32 v29, v5
	v_pk_mul_f32 v[4:5], v[42:43], v[6:7] op_sel_hi:[0,1]
	v_pk_fma_f32 v[32:33], v[20:21], v[6:7], v[4:5] op_sel:[0,0,1] op_sel_hi:[1,1,0] neg_lo:[0,0,1] neg_hi:[0,0,1]
	v_pk_fma_f32 v[4:5], v[20:21], v[6:7], v[4:5] op_sel:[0,0,1] op_sel_hi:[0,1,0]
	v_mov_b32_e32 v33, v5
	v_pk_add_f32 v[4:5], v[28:29], v[32:33]
	v_pk_add_f32 v[6:7], v[28:29], v[32:33] neg_lo:[0,1] neg_hi:[0,1]
	s_waitcnt lgkmcnt(1)
	v_pk_fma_f32 v[4:5], v[4:5], 0.5, v[26:27] op_sel_hi:[1,0,1] neg_lo:[1,0,0] neg_hi:[1,0,0]
	v_pk_mul_f32 v[6:7], v[6:7], s[2:3] op_sel_hi:[1,0]
	global_store_dwordx2 v[34:35], v[46:47], off
	v_pk_add_f32 v[34:35], v[4:5], v[6:7] op_sel:[0,1] op_sel_hi:[1,0] neg_lo:[0,1] neg_hi:[0,1]
	v_pk_add_f32 v[4:5], v[4:5], v[6:7] op_sel:[0,1] op_sel_hi:[1,0]
	v_pk_add_f32 v[6:7], v[26:27], v[28:29]
	v_lshl_add_u64 v[2:3], v[2:3], 3, v[16:17]
	v_pk_add_f32 v[6:7], v[6:7], v[32:33]
	v_lshl_add_u64 v[30:31], v[30:31], 3, v[16:17]
	v_lshl_add_u64 v[0:1], v[0:1], 3, v[16:17]
	global_store_dwordx2 v[2:3], v[6:7], off
	v_mov_b32_e32 v2, v4
	v_mov_b32_e32 v3, v35
	;; [unrolled: 1-line block ×3, first 2 shown]
	global_store_dwordx2 v[30:31], v[2:3], off
	global_store_dwordx2 v[0:1], v[34:35], off
	v_add_u32_e32 v0, 0x6c, v70
	v_mul_hi_u32 v1, v0, s4
	v_lshrrev_b32_e32 v1, 5, v1
	v_mul_lo_u32 v2, v1, s3
	v_sub_u32_e32 v0, v0, v2
	v_mad_u64_u32 v[0:1], s[4:5], v1, s5, v[0:1]
	v_mad_u64_u32 v[2:3], s[4:5], s16, v0, 0
	v_mov_b32_e32 v4, v3
	v_mad_u64_u32 v[4:5], s[4:5], s17, v0, v[4:5]
	v_add_u32_e32 v1, 0x90, v0
	v_mov_b32_e32 v3, v4
	v_mad_u64_u32 v[4:5], s[4:5], s16, v1, 0
	v_mov_b32_e32 v6, v5
	v_mad_u64_u32 v[6:7], s[4:5], s17, v1, v[6:7]
	v_add_u32_e32 v7, 0x120, v0
	v_mad_u64_u32 v[0:1], s[4:5], s16, v7, 0
	v_mov_b32_e32 v5, v6
	v_mov_b32_e32 v6, v1
	v_mad_u64_u32 v[6:7], s[4:5], s17, v7, v[6:7]
	v_mov_b32_e32 v1, v6
	v_pk_mul_f32 v[6:7], v[40:41], v[58:59] op_sel_hi:[0,1]
	v_pk_fma_f32 v[26:27], v[12:13], v[58:59], v[6:7] op_sel:[0,0,1] op_sel_hi:[1,1,0] neg_lo:[0,0,1] neg_hi:[0,0,1]
	v_pk_fma_f32 v[6:7], v[12:13], v[58:59], v[6:7] op_sel:[0,0,1] op_sel_hi:[0,1,0]
	v_mov_b32_e32 v6, v43
	v_mov_b32_e32 v27, v7
	v_pk_mul_f32 v[6:7], v[6:7], v[60:61] op_sel_hi:[0,1]
	v_mov_b32_e32 v12, v21
	v_mov_b32_e32 v18, v21
	v_pk_fma_f32 v[12:13], v[12:13], v[60:61], v[6:7] op_sel:[0,0,1] op_sel_hi:[1,1,0] neg_lo:[0,0,1] neg_hi:[0,0,1]
	v_pk_fma_f32 v[6:7], v[18:19], v[60:61], v[6:7] op_sel:[0,0,1] op_sel_hi:[0,1,0]
	v_mov_b32_e32 v13, v7
	v_pk_add_f32 v[6:7], v[26:27], v[12:13]
	v_pk_add_f32 v[20:21], v[26:27], v[12:13] neg_lo:[0,1] neg_hi:[0,1]
	s_waitcnt lgkmcnt(0)
	v_pk_fma_f32 v[6:7], v[6:7], 0.5, v[14:15] op_sel_hi:[1,0,1] neg_lo:[1,0,0] neg_hi:[1,0,0]
	v_pk_mul_f32 v[20:21], v[20:21], s[2:3] op_sel_hi:[1,0]
	v_pk_add_f32 v[14:15], v[14:15], v[26:27]
	v_lshl_add_u64 v[2:3], v[2:3], 3, v[16:17]
	v_pk_add_f32 v[28:29], v[6:7], v[20:21] op_sel:[0,1] op_sel_hi:[1,0] neg_lo:[0,1] neg_hi:[0,1]
	v_pk_add_f32 v[6:7], v[6:7], v[20:21] op_sel:[0,1] op_sel_hi:[1,0]
	v_pk_add_f32 v[12:13], v[14:15], v[12:13]
	v_lshl_add_u64 v[4:5], v[4:5], 3, v[16:17]
	v_lshl_add_u64 v[0:1], v[0:1], 3, v[16:17]
	global_store_dwordx2 v[2:3], v[12:13], off
	v_mov_b32_e32 v2, v6
	v_mov_b32_e32 v3, v29
	;; [unrolled: 1-line block ×3, first 2 shown]
	global_store_dwordx2 v[4:5], v[2:3], off
	global_store_dwordx2 v[0:1], v[28:29], off
	v_add_u32_e32 v0, 0x87, v70
	v_cmp_gt_u32_e32 vcc, s3, v0
	s_and_b64 exec, exec, vcc
	s_cbranch_execz .LBB0_34
; %bb.38:
	v_add_u32_e32 v1, -9, v70
	v_cndmask_b32_e64 v1, v1, v53, s[0:1]
	v_lshlrev_b32_e32 v18, 1, v1
	v_lshl_add_u64 v[2:3], v[18:19], 3, s[8:9]
	global_load_dwordx4 v[2:5], v[2:3], off offset:1128
	v_mad_u64_u32 v[12:13], s[0:1], s16, v0, 0
	v_add_u32_e32 v7, 0x117, v70
	v_add_u32_e32 v11, 0x1a7, v70
	v_mov_b32_e32 v14, v13
	v_mad_u64_u32 v[18:19], s[0:1], s16, v7, 0
	v_mad_u64_u32 v[20:21], s[0:1], s16, v11, 0
	;; [unrolled: 1-line block ×3, first 2 shown]
	v_mov_b32_e32 v14, v19
	v_mov_b32_e32 v24, v21
	;; [unrolled: 1-line block ×3, first 2 shown]
	v_mad_u64_u32 v[0:1], s[0:1], s17, v7, v[14:15]
	v_mad_u64_u32 v[14:15], s[0:1], s17, v11, v[24:25]
	v_mov_b32_e32 v6, v25
	v_mov_b32_e32 v19, v0
	;; [unrolled: 1-line block ×3, first 2 shown]
	v_lshl_add_u64 v[12:13], v[12:13], 3, v[16:17]
	v_lshl_add_u64 v[0:1], v[18:19], 3, v[16:17]
	;; [unrolled: 1-line block ×3, first 2 shown]
	s_waitcnt vmcnt(0)
	v_pk_mul_f32 v[6:7], v[6:7], v[2:3] op_sel_hi:[0,1]
	v_pk_mul_f32 v[16:17], v[22:23], v[4:5] op_sel_hi:[0,1]
	v_pk_fma_f32 v[18:19], v[8:9], v[2:3], v[6:7] op_sel:[0,0,1] op_sel_hi:[1,1,0] neg_lo:[0,0,1] neg_hi:[0,0,1]
	v_pk_fma_f32 v[2:3], v[8:9], v[2:3], v[6:7] op_sel:[0,0,1] op_sel_hi:[0,1,0]
	v_pk_fma_f32 v[6:7], v[10:11], v[4:5], v[16:17] op_sel:[0,0,1] op_sel_hi:[1,1,0] neg_lo:[0,0,1] neg_hi:[0,0,1]
	v_pk_fma_f32 v[4:5], v[10:11], v[4:5], v[16:17] op_sel:[0,0,1] op_sel_hi:[0,1,0]
	v_mov_b32_e32 v19, v3
	v_mov_b32_e32 v7, v5
	;; [unrolled: 1-line block ×3, first 2 shown]
	v_pk_add_f32 v[2:3], v[18:19], v[6:7]
	v_pk_add_f32 v[4:5], v[18:19], v[6:7] neg_lo:[0,1] neg_hi:[0,1]
	v_pk_add_f32 v[8:9], v[22:23], v[18:19]
	v_pk_fma_f32 v[2:3], -0.5, v[2:3], v[22:23] op_sel_hi:[0,1,1]
	v_pk_mul_f32 v[4:5], v[4:5], s[2:3] op_sel_hi:[1,0]
	v_pk_add_f32 v[6:7], v[8:9], v[6:7]
	v_pk_add_f32 v[8:9], v[2:3], v[4:5] op_sel:[0,1] op_sel_hi:[1,0]
	v_pk_add_f32 v[2:3], v[2:3], v[4:5] op_sel:[0,1] op_sel_hi:[1,0] neg_lo:[0,1] neg_hi:[0,1]
	v_mov_b32_e32 v4, v8
	v_mov_b32_e32 v5, v3
	global_store_dwordx2 v[12:13], v[6:7], off
	v_mov_b32_e32 v3, v9
	global_store_dwordx2 v[0:1], v[4:5], off
	global_store_dwordx2 v[14:15], v[2:3], off
	s_endpgm
	.section	.rodata,"a",@progbits
	.p2align	6, 0x0
	.amdhsa_kernel fft_rtc_fwd_len432_factors_3_16_3_3_wgs_54_tpt_27_halfLds_sp_op_CI_CI_sbrr_dirReg
		.amdhsa_group_segment_fixed_size 0
		.amdhsa_private_segment_fixed_size 0
		.amdhsa_kernarg_size 104
		.amdhsa_user_sgpr_count 2
		.amdhsa_user_sgpr_dispatch_ptr 0
		.amdhsa_user_sgpr_queue_ptr 0
		.amdhsa_user_sgpr_kernarg_segment_ptr 1
		.amdhsa_user_sgpr_dispatch_id 0
		.amdhsa_user_sgpr_kernarg_preload_length 0
		.amdhsa_user_sgpr_kernarg_preload_offset 0
		.amdhsa_user_sgpr_private_segment_size 0
		.amdhsa_uses_dynamic_stack 0
		.amdhsa_enable_private_segment 0
		.amdhsa_system_sgpr_workgroup_id_x 1
		.amdhsa_system_sgpr_workgroup_id_y 0
		.amdhsa_system_sgpr_workgroup_id_z 0
		.amdhsa_system_sgpr_workgroup_info 0
		.amdhsa_system_vgpr_workitem_id 0
		.amdhsa_next_free_vgpr 96
		.amdhsa_next_free_sgpr 32
		.amdhsa_accum_offset 96
		.amdhsa_reserve_vcc 1
		.amdhsa_float_round_mode_32 0
		.amdhsa_float_round_mode_16_64 0
		.amdhsa_float_denorm_mode_32 3
		.amdhsa_float_denorm_mode_16_64 3
		.amdhsa_dx10_clamp 1
		.amdhsa_ieee_mode 1
		.amdhsa_fp16_overflow 0
		.amdhsa_tg_split 0
		.amdhsa_exception_fp_ieee_invalid_op 0
		.amdhsa_exception_fp_denorm_src 0
		.amdhsa_exception_fp_ieee_div_zero 0
		.amdhsa_exception_fp_ieee_overflow 0
		.amdhsa_exception_fp_ieee_underflow 0
		.amdhsa_exception_fp_ieee_inexact 0
		.amdhsa_exception_int_div_zero 0
	.end_amdhsa_kernel
	.text
.Lfunc_end0:
	.size	fft_rtc_fwd_len432_factors_3_16_3_3_wgs_54_tpt_27_halfLds_sp_op_CI_CI_sbrr_dirReg, .Lfunc_end0-fft_rtc_fwd_len432_factors_3_16_3_3_wgs_54_tpt_27_halfLds_sp_op_CI_CI_sbrr_dirReg
                                        ; -- End function
	.section	.AMDGPU.csdata,"",@progbits
; Kernel info:
; codeLenInByte = 9692
; NumSgprs: 38
; NumVgprs: 96
; NumAgprs: 0
; TotalNumVgprs: 96
; ScratchSize: 0
; MemoryBound: 0
; FloatMode: 240
; IeeeMode: 1
; LDSByteSize: 0 bytes/workgroup (compile time only)
; SGPRBlocks: 4
; VGPRBlocks: 11
; NumSGPRsForWavesPerEU: 38
; NumVGPRsForWavesPerEU: 96
; AccumOffset: 96
; Occupancy: 5
; WaveLimiterHint : 1
; COMPUTE_PGM_RSRC2:SCRATCH_EN: 0
; COMPUTE_PGM_RSRC2:USER_SGPR: 2
; COMPUTE_PGM_RSRC2:TRAP_HANDLER: 0
; COMPUTE_PGM_RSRC2:TGID_X_EN: 1
; COMPUTE_PGM_RSRC2:TGID_Y_EN: 0
; COMPUTE_PGM_RSRC2:TGID_Z_EN: 0
; COMPUTE_PGM_RSRC2:TIDIG_COMP_CNT: 0
; COMPUTE_PGM_RSRC3_GFX90A:ACCUM_OFFSET: 23
; COMPUTE_PGM_RSRC3_GFX90A:TG_SPLIT: 0
	.text
	.p2alignl 6, 3212836864
	.fill 256, 4, 3212836864
	.type	__hip_cuid_e8614551403ed23e,@object ; @__hip_cuid_e8614551403ed23e
	.section	.bss,"aw",@nobits
	.globl	__hip_cuid_e8614551403ed23e
__hip_cuid_e8614551403ed23e:
	.byte	0                               ; 0x0
	.size	__hip_cuid_e8614551403ed23e, 1

	.ident	"AMD clang version 19.0.0git (https://github.com/RadeonOpenCompute/llvm-project roc-6.4.0 25133 c7fe45cf4b819c5991fe208aaa96edf142730f1d)"
	.section	".note.GNU-stack","",@progbits
	.addrsig
	.addrsig_sym __hip_cuid_e8614551403ed23e
	.amdgpu_metadata
---
amdhsa.kernels:
  - .agpr_count:     0
    .args:
      - .actual_access:  read_only
        .address_space:  global
        .offset:         0
        .size:           8
        .value_kind:     global_buffer
      - .offset:         8
        .size:           8
        .value_kind:     by_value
      - .actual_access:  read_only
        .address_space:  global
        .offset:         16
        .size:           8
        .value_kind:     global_buffer
      - .actual_access:  read_only
        .address_space:  global
        .offset:         24
        .size:           8
        .value_kind:     global_buffer
      - .actual_access:  read_only
        .address_space:  global
        .offset:         32
        .size:           8
        .value_kind:     global_buffer
      - .offset:         40
        .size:           8
        .value_kind:     by_value
      - .actual_access:  read_only
        .address_space:  global
        .offset:         48
        .size:           8
        .value_kind:     global_buffer
      - .actual_access:  read_only
        .address_space:  global
        .offset:         56
        .size:           8
        .value_kind:     global_buffer
      - .offset:         64
        .size:           4
        .value_kind:     by_value
      - .actual_access:  read_only
        .address_space:  global
        .offset:         72
        .size:           8
        .value_kind:     global_buffer
      - .actual_access:  read_only
        .address_space:  global
        .offset:         80
        .size:           8
        .value_kind:     global_buffer
      - .actual_access:  read_only
        .address_space:  global
        .offset:         88
        .size:           8
        .value_kind:     global_buffer
      - .actual_access:  write_only
        .address_space:  global
        .offset:         96
        .size:           8
        .value_kind:     global_buffer
    .group_segment_fixed_size: 0
    .kernarg_segment_align: 8
    .kernarg_segment_size: 104
    .language:       OpenCL C
    .language_version:
      - 2
      - 0
    .max_flat_workgroup_size: 54
    .name:           fft_rtc_fwd_len432_factors_3_16_3_3_wgs_54_tpt_27_halfLds_sp_op_CI_CI_sbrr_dirReg
    .private_segment_fixed_size: 0
    .sgpr_count:     38
    .sgpr_spill_count: 0
    .symbol:         fft_rtc_fwd_len432_factors_3_16_3_3_wgs_54_tpt_27_halfLds_sp_op_CI_CI_sbrr_dirReg.kd
    .uniform_work_group_size: 1
    .uses_dynamic_stack: false
    .vgpr_count:     96
    .vgpr_spill_count: 0
    .wavefront_size: 64
amdhsa.target:   amdgcn-amd-amdhsa--gfx950
amdhsa.version:
  - 1
  - 2
...

	.end_amdgpu_metadata
